;; amdgpu-corpus repo=ROCm/rocFFT kind=compiled arch=gfx906 opt=O3
	.text
	.amdgcn_target "amdgcn-amd-amdhsa--gfx906"
	.amdhsa_code_object_version 6
	.protected	fft_rtc_fwd_len1875_factors_5_5_5_5_3_wgs_250_tpt_125_halfLds_half_ip_CI_sbrr_dirReg ; -- Begin function fft_rtc_fwd_len1875_factors_5_5_5_5_3_wgs_250_tpt_125_halfLds_half_ip_CI_sbrr_dirReg
	.globl	fft_rtc_fwd_len1875_factors_5_5_5_5_3_wgs_250_tpt_125_halfLds_half_ip_CI_sbrr_dirReg
	.p2align	8
	.type	fft_rtc_fwd_len1875_factors_5_5_5_5_3_wgs_250_tpt_125_halfLds_half_ip_CI_sbrr_dirReg,@function
fft_rtc_fwd_len1875_factors_5_5_5_5_3_wgs_250_tpt_125_halfLds_half_ip_CI_sbrr_dirReg: ; @fft_rtc_fwd_len1875_factors_5_5_5_5_3_wgs_250_tpt_125_halfLds_half_ip_CI_sbrr_dirReg
; %bb.0:
	s_load_dwordx2 s[14:15], s[4:5], 0x18
	s_load_dwordx4 s[8:11], s[4:5], 0x0
	s_load_dwordx2 s[12:13], s[4:5], 0x50
	v_mul_u32_u24_e32 v1, 0x20d, v0
	v_lshrrev_b32_e32 v9, 16, v1
	s_waitcnt lgkmcnt(0)
	s_load_dwordx2 s[2:3], s[14:15], 0x0
	v_cmp_lt_u64_e64 s[0:1], s[10:11], 2
	v_mov_b32_e32 v3, 0
	v_mov_b32_e32 v1, 0
	v_lshl_add_u32 v5, s6, 1, v9
	v_mov_b32_e32 v6, v3
	s_and_b64 vcc, exec, s[0:1]
	v_mov_b32_e32 v2, 0
	s_cbranch_vccnz .LBB0_8
; %bb.1:
	s_load_dwordx2 s[0:1], s[4:5], 0x10
	s_add_u32 s6, s14, 8
	s_addc_u32 s7, s15, 0
	v_mov_b32_e32 v1, 0
	v_mov_b32_e32 v2, 0
	s_waitcnt lgkmcnt(0)
	s_add_u32 s16, s0, 8
	s_addc_u32 s17, s1, 0
	s_mov_b64 s[18:19], 1
.LBB0_2:                                ; =>This Inner Loop Header: Depth=1
	s_load_dwordx2 s[20:21], s[16:17], 0x0
                                        ; implicit-def: $vgpr7_vgpr8
	s_waitcnt lgkmcnt(0)
	v_or_b32_e32 v4, s21, v6
	v_cmp_ne_u64_e32 vcc, 0, v[3:4]
	s_and_saveexec_b64 s[0:1], vcc
	s_xor_b64 s[22:23], exec, s[0:1]
	s_cbranch_execz .LBB0_4
; %bb.3:                                ;   in Loop: Header=BB0_2 Depth=1
	v_cvt_f32_u32_e32 v4, s20
	v_cvt_f32_u32_e32 v7, s21
	s_sub_u32 s0, 0, s20
	s_subb_u32 s1, 0, s21
	v_mac_f32_e32 v4, 0x4f800000, v7
	v_rcp_f32_e32 v4, v4
	v_mul_f32_e32 v4, 0x5f7ffffc, v4
	v_mul_f32_e32 v7, 0x2f800000, v4
	v_trunc_f32_e32 v7, v7
	v_mac_f32_e32 v4, 0xcf800000, v7
	v_cvt_u32_f32_e32 v7, v7
	v_cvt_u32_f32_e32 v4, v4
	v_mul_lo_u32 v8, s0, v7
	v_mul_hi_u32 v10, s0, v4
	v_mul_lo_u32 v12, s1, v4
	v_mul_lo_u32 v11, s0, v4
	v_add_u32_e32 v8, v10, v8
	v_add_u32_e32 v8, v8, v12
	v_mul_hi_u32 v10, v4, v11
	v_mul_lo_u32 v12, v4, v8
	v_mul_hi_u32 v14, v4, v8
	v_mul_hi_u32 v13, v7, v11
	v_mul_lo_u32 v11, v7, v11
	v_mul_hi_u32 v15, v7, v8
	v_add_co_u32_e32 v10, vcc, v10, v12
	v_addc_co_u32_e32 v12, vcc, 0, v14, vcc
	v_mul_lo_u32 v8, v7, v8
	v_add_co_u32_e32 v10, vcc, v10, v11
	v_addc_co_u32_e32 v10, vcc, v12, v13, vcc
	v_addc_co_u32_e32 v11, vcc, 0, v15, vcc
	v_add_co_u32_e32 v8, vcc, v10, v8
	v_addc_co_u32_e32 v10, vcc, 0, v11, vcc
	v_add_co_u32_e32 v4, vcc, v4, v8
	v_addc_co_u32_e32 v7, vcc, v7, v10, vcc
	v_mul_lo_u32 v8, s0, v7
	v_mul_hi_u32 v10, s0, v4
	v_mul_lo_u32 v11, s1, v4
	v_mul_lo_u32 v12, s0, v4
	v_add_u32_e32 v8, v10, v8
	v_add_u32_e32 v8, v8, v11
	v_mul_lo_u32 v13, v4, v8
	v_mul_hi_u32 v14, v4, v12
	v_mul_hi_u32 v15, v4, v8
	v_mul_hi_u32 v11, v7, v12
	v_mul_lo_u32 v12, v7, v12
	v_mul_hi_u32 v10, v7, v8
	v_add_co_u32_e32 v13, vcc, v14, v13
	v_addc_co_u32_e32 v14, vcc, 0, v15, vcc
	v_mul_lo_u32 v8, v7, v8
	v_add_co_u32_e32 v12, vcc, v13, v12
	v_addc_co_u32_e32 v11, vcc, v14, v11, vcc
	v_addc_co_u32_e32 v10, vcc, 0, v10, vcc
	v_add_co_u32_e32 v8, vcc, v11, v8
	v_addc_co_u32_e32 v10, vcc, 0, v10, vcc
	v_add_co_u32_e32 v4, vcc, v4, v8
	v_addc_co_u32_e32 v10, vcc, v7, v10, vcc
	v_mad_u64_u32 v[7:8], s[0:1], v5, v10, 0
	v_mul_hi_u32 v11, v5, v4
	v_add_co_u32_e32 v12, vcc, v11, v7
	v_addc_co_u32_e32 v13, vcc, 0, v8, vcc
	v_mad_u64_u32 v[7:8], s[0:1], v6, v4, 0
	v_mad_u64_u32 v[10:11], s[0:1], v6, v10, 0
	v_add_co_u32_e32 v4, vcc, v12, v7
	v_addc_co_u32_e32 v4, vcc, v13, v8, vcc
	v_addc_co_u32_e32 v7, vcc, 0, v11, vcc
	v_add_co_u32_e32 v4, vcc, v4, v10
	v_addc_co_u32_e32 v10, vcc, 0, v7, vcc
	v_mul_lo_u32 v11, s21, v4
	v_mul_lo_u32 v12, s20, v10
	v_mad_u64_u32 v[7:8], s[0:1], s20, v4, 0
	v_add3_u32 v8, v8, v12, v11
	v_sub_u32_e32 v11, v6, v8
	v_mov_b32_e32 v12, s21
	v_sub_co_u32_e32 v7, vcc, v5, v7
	v_subb_co_u32_e64 v11, s[0:1], v11, v12, vcc
	v_subrev_co_u32_e64 v12, s[0:1], s20, v7
	v_subbrev_co_u32_e64 v11, s[0:1], 0, v11, s[0:1]
	v_cmp_le_u32_e64 s[0:1], s21, v11
	v_cndmask_b32_e64 v13, 0, -1, s[0:1]
	v_cmp_le_u32_e64 s[0:1], s20, v12
	v_cndmask_b32_e64 v12, 0, -1, s[0:1]
	v_cmp_eq_u32_e64 s[0:1], s21, v11
	v_cndmask_b32_e64 v11, v13, v12, s[0:1]
	v_add_co_u32_e64 v12, s[0:1], 2, v4
	v_addc_co_u32_e64 v13, s[0:1], 0, v10, s[0:1]
	v_add_co_u32_e64 v14, s[0:1], 1, v4
	v_addc_co_u32_e64 v15, s[0:1], 0, v10, s[0:1]
	v_subb_co_u32_e32 v8, vcc, v6, v8, vcc
	v_cmp_ne_u32_e64 s[0:1], 0, v11
	v_cmp_le_u32_e32 vcc, s21, v8
	v_cndmask_b32_e64 v11, v15, v13, s[0:1]
	v_cndmask_b32_e64 v13, 0, -1, vcc
	v_cmp_le_u32_e32 vcc, s20, v7
	v_cndmask_b32_e64 v7, 0, -1, vcc
	v_cmp_eq_u32_e32 vcc, s21, v8
	v_cndmask_b32_e32 v7, v13, v7, vcc
	v_cmp_ne_u32_e32 vcc, 0, v7
	v_cndmask_b32_e64 v7, v14, v12, s[0:1]
	v_cndmask_b32_e32 v8, v10, v11, vcc
	v_cndmask_b32_e32 v7, v4, v7, vcc
.LBB0_4:                                ;   in Loop: Header=BB0_2 Depth=1
	s_andn2_saveexec_b64 s[0:1], s[22:23]
	s_cbranch_execz .LBB0_6
; %bb.5:                                ;   in Loop: Header=BB0_2 Depth=1
	v_cvt_f32_u32_e32 v4, s20
	s_sub_i32 s22, 0, s20
	v_rcp_iflag_f32_e32 v4, v4
	v_mul_f32_e32 v4, 0x4f7ffffe, v4
	v_cvt_u32_f32_e32 v4, v4
	v_mul_lo_u32 v7, s22, v4
	v_mul_hi_u32 v7, v4, v7
	v_add_u32_e32 v4, v4, v7
	v_mul_hi_u32 v4, v5, v4
	v_mul_lo_u32 v7, v4, s20
	v_add_u32_e32 v8, 1, v4
	v_sub_u32_e32 v7, v5, v7
	v_subrev_u32_e32 v10, s20, v7
	v_cmp_le_u32_e32 vcc, s20, v7
	v_cndmask_b32_e32 v7, v7, v10, vcc
	v_cndmask_b32_e32 v4, v4, v8, vcc
	v_add_u32_e32 v8, 1, v4
	v_cmp_le_u32_e32 vcc, s20, v7
	v_cndmask_b32_e32 v7, v4, v8, vcc
	v_mov_b32_e32 v8, v3
.LBB0_6:                                ;   in Loop: Header=BB0_2 Depth=1
	s_or_b64 exec, exec, s[0:1]
	v_mul_lo_u32 v4, v8, s20
	v_mul_lo_u32 v12, v7, s21
	v_mad_u64_u32 v[10:11], s[0:1], v7, s20, 0
	s_load_dwordx2 s[0:1], s[6:7], 0x0
	s_add_u32 s18, s18, 1
	v_add3_u32 v4, v11, v12, v4
	v_sub_co_u32_e32 v5, vcc, v5, v10
	v_subb_co_u32_e32 v4, vcc, v6, v4, vcc
	s_waitcnt lgkmcnt(0)
	v_mul_lo_u32 v4, s0, v4
	v_mul_lo_u32 v6, s1, v5
	v_mad_u64_u32 v[1:2], s[0:1], s0, v5, v[1:2]
	s_addc_u32 s19, s19, 0
	s_add_u32 s6, s6, 8
	v_add3_u32 v2, v6, v2, v4
	v_mov_b32_e32 v4, s10
	v_mov_b32_e32 v5, s11
	s_addc_u32 s7, s7, 0
	v_cmp_ge_u64_e32 vcc, s[18:19], v[4:5]
	s_add_u32 s16, s16, 8
	s_addc_u32 s17, s17, 0
	s_cbranch_vccnz .LBB0_9
; %bb.7:                                ;   in Loop: Header=BB0_2 Depth=1
	v_mov_b32_e32 v5, v7
	v_mov_b32_e32 v6, v8
	s_branch .LBB0_2
.LBB0_8:
	v_mov_b32_e32 v8, v6
	v_mov_b32_e32 v7, v5
.LBB0_9:
	s_lshl_b64 s[0:1], s[10:11], 3
	s_add_u32 s0, s14, s0
	s_addc_u32 s1, s15, s1
	s_load_dwordx2 s[6:7], s[0:1], 0x0
	s_load_dwordx2 s[10:11], s[4:5], 0x20
                                        ; implicit-def: $vgpr6
	s_waitcnt lgkmcnt(0)
	v_mad_u64_u32 v[1:2], s[0:1], s6, v7, v[1:2]
	s_mov_b32 s0, 0x20c49bb
	v_mul_lo_u32 v3, s6, v8
	v_mul_lo_u32 v4, s7, v7
	v_mul_hi_u32 v5, v0, s0
	v_cmp_gt_u64_e32 vcc, s[10:11], v[7:8]
	v_cmp_le_u64_e64 s[0:1], s[10:11], v[7:8]
	v_add3_u32 v2, v4, v2, v3
	v_mul_u32_u24_e32 v3, 0x7d, v5
	v_sub_u32_e32 v4, v0, v3
                                        ; implicit-def: $vgpr5
                                        ; implicit-def: $vgpr8
                                        ; implicit-def: $vgpr7
	s_and_saveexec_b64 s[4:5], s[0:1]
	s_xor_b64 s[0:1], exec, s[4:5]
; %bb.10:
	v_add_u32_e32 v5, 0x7d, v4
	v_add_u32_e32 v8, 0xfa, v4
	;; [unrolled: 1-line block ×4, first 2 shown]
; %bb.11:
	s_or_saveexec_b64 s[4:5], s[0:1]
	v_lshlrev_b64 v[0:1], 2, v[1:2]
                                        ; implicit-def: $vgpr24
                                        ; implicit-def: $vgpr22
                                        ; implicit-def: $vgpr25
                                        ; implicit-def: $vgpr20
                                        ; implicit-def: $vgpr26
                                        ; implicit-def: $vgpr21
                                        ; implicit-def: $vgpr27
                                        ; implicit-def: $vgpr23
                                        ; implicit-def: $vgpr28
                                        ; implicit-def: $vgpr19
                                        ; implicit-def: $vgpr33
                                        ; implicit-def: $vgpr31
                                        ; implicit-def: $vgpr34
                                        ; implicit-def: $vgpr32
                                        ; implicit-def: $vgpr35
                                        ; implicit-def: $vgpr17
                                        ; implicit-def: $vgpr36
                                        ; implicit-def: $vgpr18
                                        ; implicit-def: $vgpr37
                                        ; implicit-def: $vgpr13
                                        ; implicit-def: $vgpr14
                                        ; implicit-def: $vgpr3
                                        ; implicit-def: $vgpr16
                                        ; implicit-def: $vgpr10
                                        ; implicit-def: $vgpr29
                                        ; implicit-def: $vgpr11
                                        ; implicit-def: $vgpr30
                                        ; implicit-def: $vgpr12
                                        ; implicit-def: $vgpr38
                                        ; implicit-def: $vgpr2
	s_xor_b64 exec, exec, s[4:5]
	s_cbranch_execz .LBB0_13
; %bb.12:
	v_mad_u64_u32 v[2:3], s[0:1], s2, v4, 0
	v_mov_b32_e32 v10, s13
	v_add_u32_e32 v13, 0x2ee, v4
	v_mad_u64_u32 v[5:6], s[0:1], s3, v4, v[3:4]
	v_add_u32_e32 v6, 0x177, v4
	v_mad_u64_u32 v[7:8], s[0:1], s2, v6, 0
	v_mov_b32_e32 v3, v5
	v_add_co_u32_e64 v37, s[0:1], s12, v0
	v_mov_b32_e32 v5, v8
	v_addc_co_u32_e64 v38, s[0:1], v10, v1, s[0:1]
	v_mad_u64_u32 v[10:11], s[0:1], s3, v6, v[5:6]
	v_mad_u64_u32 v[11:12], s[0:1], s2, v13, 0
	v_lshlrev_b64 v[2:3], 2, v[2:3]
	v_mov_b32_e32 v8, v10
	v_add_co_u32_e64 v14, s[0:1], v37, v2
	v_mov_b32_e32 v5, v12
	v_addc_co_u32_e64 v15, s[0:1], v38, v3, s[0:1]
	v_lshlrev_b64 v[2:3], 2, v[7:8]
	v_mad_u64_u32 v[7:8], s[0:1], s3, v13, v[5:6]
	v_add_u32_e32 v8, 0x465, v4
	v_mad_u64_u32 v[16:17], s[0:1], s2, v8, 0
	v_add_co_u32_e64 v19, s[0:1], v37, v2
	v_mov_b32_e32 v5, v17
	v_addc_co_u32_e64 v20, s[0:1], v38, v3, s[0:1]
	v_mov_b32_e32 v12, v7
	v_mad_u64_u32 v[7:8], s[0:1], s3, v8, v[5:6]
	v_add_u32_e32 v8, 0x5dc, v4
	v_lshlrev_b64 v[2:3], 2, v[11:12]
	v_mad_u64_u32 v[10:11], s[0:1], s2, v8, 0
	v_add_co_u32_e64 v21, s[0:1], v37, v2
	v_mov_b32_e32 v5, v11
	v_addc_co_u32_e64 v22, s[0:1], v38, v3, s[0:1]
	v_mov_b32_e32 v17, v7
	v_mad_u64_u32 v[7:8], s[0:1], s3, v8, v[5:6]
	v_add_u32_e32 v5, 0x7d, v4
	v_mad_u64_u32 v[12:13], s[0:1], s2, v5, 0
	v_lshlrev_b64 v[2:3], 2, v[16:17]
	v_mov_b32_e32 v11, v7
	v_add_co_u32_e64 v23, s[0:1], v37, v2
	v_mov_b32_e32 v7, v13
	v_addc_co_u32_e64 v24, s[0:1], v38, v3, s[0:1]
	v_lshlrev_b64 v[2:3], 2, v[10:11]
	v_mad_u64_u32 v[10:11], s[0:1], s3, v5, v[7:8]
	v_add_u32_e32 v7, 0x1f4, v4
	v_mad_u64_u32 v[16:17], s[0:1], s2, v7, 0
	v_add_co_u32_e64 v25, s[0:1], v37, v2
	v_mov_b32_e32 v13, v10
	v_mov_b32_e32 v8, v17
	v_addc_co_u32_e64 v26, s[0:1], v38, v3, s[0:1]
	v_lshlrev_b64 v[2:3], 2, v[12:13]
	v_mad_u64_u32 v[10:11], s[0:1], s3, v7, v[8:9]
	v_add_u32_e32 v13, 0x36b, v4
	v_mad_u64_u32 v[11:12], s[0:1], s2, v13, 0
	v_add_co_u32_e64 v27, s[0:1], v37, v2
	v_mov_b32_e32 v17, v10
	v_addc_co_u32_e64 v28, s[0:1], v38, v3, s[0:1]
	v_lshlrev_b64 v[2:3], 2, v[16:17]
	v_mov_b32_e32 v8, v12
	v_mad_u64_u32 v[12:13], s[0:1], s3, v13, v[8:9]
	v_add_co_u32_e64 v29, s[0:1], v37, v2
	v_add_u32_e32 v8, 0x4e2, v4
	v_addc_co_u32_e64 v30, s[0:1], v38, v3, s[0:1]
	v_mad_u64_u32 v[31:32], s[0:1], s2, v8, 0
	v_lshlrev_b64 v[2:3], 2, v[11:12]
	v_add_u32_e32 v39, 0x659, v4
	v_add_co_u32_e64 v33, s[0:1], v37, v2
	v_mov_b32_e32 v2, v32
	v_addc_co_u32_e64 v34, s[0:1], v38, v3, s[0:1]
	v_mad_u64_u32 v[16:17], s[0:1], s3, v8, v[2:3]
	global_load_dword v2, v[14:15], off
	global_load_dword v12, v[19:20], off
	;; [unrolled: 1-line block ×8, first 2 shown]
	v_mad_u64_u32 v[35:36], s[0:1], s2, v39, 0
	v_mov_b32_e32 v32, v16
	v_lshlrev_b64 v[14:15], 2, v[31:32]
	v_mov_b32_e32 v8, v36
	v_mad_u64_u32 v[19:20], s[0:1], s3, v39, v[8:9]
	v_add_u32_e32 v8, 0xfa, v4
	v_mad_u64_u32 v[20:21], s[0:1], s2, v8, 0
	v_add_co_u32_e64 v14, s[0:1], v37, v14
	v_mov_b32_e32 v16, v21
	v_addc_co_u32_e64 v15, s[0:1], v38, v15, s[0:1]
	v_add_u32_e32 v29, 0x271, v4
	v_mov_b32_e32 v36, v19
	v_lshlrev_b64 v[22:23], 2, v[35:36]
	s_waitcnt vmcnt(0)
	v_mad_u64_u32 v[24:25], s[0:1], s3, v8, v[16:17]
	v_mad_u64_u32 v[25:26], s[0:1], s2, v29, 0
	v_add_co_u32_e64 v27, s[0:1], v37, v22
	v_mov_b32_e32 v21, v24
	v_mov_b32_e32 v16, v26
	v_addc_co_u32_e64 v28, s[0:1], v38, v23, s[0:1]
	v_lshlrev_b64 v[19:20], 2, v[20:21]
	v_mad_u64_u32 v[21:22], s[0:1], s3, v29, v[16:17]
	v_add_u32_e32 v24, 0x3e8, v4
	v_mad_u64_u32 v[22:23], s[0:1], s2, v24, 0
	v_add_co_u32_e64 v29, s[0:1], v37, v19
	v_mov_b32_e32 v16, v23
	v_addc_co_u32_e64 v30, s[0:1], v38, v20, s[0:1]
	v_mov_b32_e32 v26, v21
	v_mad_u64_u32 v[23:24], s[0:1], s3, v24, v[16:17]
	v_add_u32_e32 v21, 0x55f, v4
	v_lshlrev_b64 v[19:20], 2, v[25:26]
	v_mad_u64_u32 v[24:25], s[0:1], s2, v21, 0
	v_add_co_u32_e64 v33, s[0:1], v37, v19
	v_mov_b32_e32 v16, v25
	v_addc_co_u32_e64 v34, s[0:1], v38, v20, s[0:1]
	v_lshlrev_b64 v[19:20], 2, v[22:23]
	v_mad_u64_u32 v[21:22], s[0:1], s3, v21, v[16:17]
	v_add_u32_e32 v26, 0x6d6, v4
	v_mad_u64_u32 v[22:23], s[0:1], s2, v26, 0
	v_add_co_u32_e64 v35, s[0:1], v37, v19
	v_mov_b32_e32 v25, v21
	v_mov_b32_e32 v16, v23
	v_addc_co_u32_e64 v36, s[0:1], v38, v20, s[0:1]
	v_lshlrev_b64 v[19:20], 2, v[24:25]
	v_mad_u64_u32 v[23:24], s[0:1], s3, v26, v[16:17]
	v_add_co_u32_e64 v24, s[0:1], v37, v19
	v_addc_co_u32_e64 v25, s[0:1], v38, v20, s[0:1]
	v_lshlrev_b64 v[19:20], 2, v[22:23]
	v_lshrrev_b32_e32 v16, 16, v10
	v_add_co_u32_e64 v37, s[0:1], v37, v19
	v_addc_co_u32_e64 v38, s[0:1], v38, v20, s[0:1]
	global_load_dword v32, v[14:15], off
	global_load_dword v31, v[27:28], off
	;; [unrolled: 1-line block ×7, first 2 shown]
	v_lshrrev_b32_e32 v38, 16, v2
	v_lshrrev_b32_e32 v30, 16, v12
	;; [unrolled: 1-line block ×7, first 2 shown]
	s_waitcnt vmcnt(6)
	v_lshrrev_b32_e32 v34, 16, v32
	s_waitcnt vmcnt(5)
	v_lshrrev_b32_e32 v33, 16, v31
	;; [unrolled: 2-line block ×7, first 2 shown]
.LBB0_13:
	s_or_b64 exec, exec, s[4:5]
	v_sub_f16_e32 v15, v12, v11
	v_sub_f16_e32 v39, v3, v10
	v_add_f16_e32 v41, v39, v15
	v_sub_f16_e32 v15, v11, v12
	v_sub_f16_e32 v39, v10, v3
	v_add_f16_e32 v15, v39, v15
	v_add_f16_e32 v39, v3, v12
	s_movk_i32 s6, 0x3b9c
	s_mov_b32 s7, 0xbb9c
	v_fma_f16 v39, v39, -0.5, v2
	v_sub_f16_e32 v43, v29, v16
	s_movk_i32 s5, 0x38b4
	s_mov_b32 s10, 0xb8b4
	v_sub_f16_e32 v42, v30, v14
	v_fma_f16 v40, v43, s7, v39
	v_fma_f16 v39, v43, s6, v39
	s_movk_i32 s4, 0x34f2
	v_fma_f16 v40, v42, s5, v40
	v_fma_f16 v39, v42, s10, v39
	;; [unrolled: 1-line block ×4, first 2 shown]
	v_add_f16_e32 v39, v10, v11
	v_fma_f16 v44, v39, -0.5, v2
	v_add_f16_e32 v2, v12, v2
	v_add_f16_e32 v2, v11, v2
	v_fma_f16 v39, v42, s6, v44
	v_add_f16_e32 v2, v10, v2
	v_fma_f16 v39, v43, s5, v39
	;; [unrolled: 2-line block ×3, first 2 shown]
	v_pack_b32_f16 v39, v2, v39
	v_and_b32_e32 v2, 1, v9
	v_mov_b32_e32 v9, 0xea6
	v_cmp_eq_u32_e64 s[0:1], 1, v2
	v_cndmask_b32_e64 v2, 0, v9, s[0:1]
	v_pack_b32_f16 v40, v40, v15
	v_add_u32_e32 v15, 0, v2
	v_mad_u32_u24 v45, v4, 10, v15
	ds_write_b64 v45, v[39:40]
	v_sub_f16_e32 v9, v18, v17
	v_sub_f16_e32 v39, v31, v32
	v_add_f16_e32 v9, v39, v9
	v_sub_f16_e32 v39, v17, v18
	v_sub_f16_e32 v40, v32, v31
	v_add_f16_e32 v39, v40, v39
	v_add_f16_e32 v40, v31, v18
	v_fma_f16 v40, v40, -0.5, v13
	v_sub_f16_e32 v47, v35, v34
	v_sub_f16_e32 v46, v36, v33
	v_fma_f16 v48, v47, s7, v40
	v_fma_f16 v40, v47, s6, v40
	;; [unrolled: 1-line block ×6, first 2 shown]
	v_add_f16_e32 v40, v32, v17
	v_fma_f16 v49, v40, -0.5, v13
	v_add_f16_e32 v13, v18, v13
	v_add_f16_e32 v13, v17, v13
	v_fma_f16 v40, v46, s6, v49
	v_add_f16_e32 v13, v32, v13
	v_fma_f16 v40, v47, s5, v40
	;; [unrolled: 2-line block ×3, first 2 shown]
	v_pack_b32_f16 v40, v48, v39
	v_pack_b32_f16 v39, v13, v50
	v_fma_f16 v13, v42, s7, v44
	v_fma_f16 v13, v43, s10, v13
	;; [unrolled: 1-line block ×3, first 2 shown]
	v_mad_i32_i24 v41, v5, 10, v15
	ds_write_b16 v45, v13 offset:8
	ds_write_b64 v41, v[39:40]
	v_sub_f16_e32 v13, v23, v21
	v_sub_f16_e32 v39, v22, v20
	v_add_f16_e32 v13, v39, v13
	v_sub_f16_e32 v39, v21, v23
	v_sub_f16_e32 v40, v20, v22
	v_add_f16_e32 v39, v40, v39
	v_add_f16_e32 v40, v22, v23
	v_fma_f16 v40, v40, -0.5, v19
	v_sub_f16_e32 v43, v26, v25
	v_sub_f16_e32 v42, v27, v24
	v_fma_f16 v44, v43, s7, v40
	v_fma_f16 v40, v43, s6, v40
	;; [unrolled: 1-line block ×6, first 2 shown]
	v_add_f16_e32 v40, v20, v21
	v_fma_f16 v48, v40, -0.5, v19
	v_add_f16_e32 v19, v23, v19
	v_add_f16_e32 v19, v21, v19
	v_fma_f16 v40, v42, s6, v48
	v_add_f16_e32 v19, v20, v19
	v_fma_f16 v40, v43, s5, v40
	;; [unrolled: 2-line block ×3, first 2 shown]
	v_pack_b32_f16 v40, v44, v39
	v_pack_b32_f16 v39, v19, v50
	v_fma_f16 v19, v46, s7, v49
	v_fma_f16 v19, v47, s10, v19
	;; [unrolled: 1-line block ×3, first 2 shown]
	v_mad_i32_i24 v44, v8, 10, v15
	ds_write_b16 v41, v9 offset:8
	ds_write_b64 v44, v[39:40]
	v_sub_f16_e32 v40, v12, v3
	v_sub_f16_e32 v46, v11, v10
	;; [unrolled: 1-line block ×6, first 2 shown]
	v_add_f16_e32 v47, v9, v3
	v_add_f16_e32 v3, v16, v29
	;; [unrolled: 1-line block ×3, first 2 shown]
	v_fma_f16 v11, v42, s7, v48
	v_fma_f16 v49, v3, -0.5, v38
	v_add_f16_e32 v3, v14, v30
	v_fma_f16 v11, v43, s10, v11
	v_fma_f16 v3, v3, -0.5, v38
	v_fma_f16 v11, v13, s4, v11
	ds_write_b16 v44, v11 offset:8
	v_fma_f16 v11, v46, s6, v3
	v_fma_f16 v3, v46, s7, v3
	v_add_f16_e32 v9, v30, v38
	v_fma_f16 v11, v40, s10, v11
	v_fma_f16 v3, v40, s5, v3
	v_add_f16_e32 v9, v29, v9
	v_pack_b32_f16 v3, v11, v3
	v_fma_f16 v11, v40, s7, v49
	v_add_f16_e32 v9, v16, v9
	v_fma_f16 v11, v46, s10, v11
	v_mul_f16_e32 v10, 0x34f2, v10
	v_add_f16_e32 v9, v14, v9
	v_fma_f16 v11, v47, s4, v11
	v_pk_add_f16 v39, v10, v3 op_sel_hi:[0,1]
	v_lshlrev_b32_e32 v3, 3, v4
	v_pack_b32_f16 v38, v9, v11
	v_sub_u32_e32 v9, v45, v3
	v_lshlrev_b32_e32 v3, 3, v5
	v_sub_u32_e32 v12, v41, v3
	v_lshlrev_b32_e32 v3, 3, v8
	v_sub_u32_e32 v13, v44, v3
	v_lshl_add_u32 v10, v4, 1, v15
	s_waitcnt lgkmcnt(0)
	s_barrier
	v_lshl_add_u32 v11, v6, 1, v15
	ds_read_u16 v19, v10
	ds_read_u16 v42, v11
	v_lshl_add_u32 v14, v7, 1, v15
	ds_read_u16 v3, v13
	ds_read_u16 v43, v9 offset:2500
	ds_read_u16 v48, v9 offset:2250
	;; [unrolled: 1-line block ×6, first 2 shown]
	ds_read_u16 v53, v14
	ds_read_u16 v16, v12
	ds_read_u16 v29, v9 offset:3500
	ds_read_u16 v54, v9 offset:3250
	;; [unrolled: 1-line block ×4, first 2 shown]
	s_waitcnt lgkmcnt(0)
	s_barrier
	ds_write_b64 v45, v[38:39]
	v_fma_f16 v38, v40, s6, v49
	v_fma_f16 v38, v46, s5, v38
	;; [unrolled: 1-line block ×3, first 2 shown]
	v_sub_f16_e32 v31, v18, v31
	v_sub_f16_e32 v32, v17, v32
	;; [unrolled: 1-line block ×4, first 2 shown]
	ds_write_b16 v45, v38 offset:8
	v_add_f16_e32 v38, v18, v17
	v_add_f16_e32 v17, v34, v35
	;; [unrolled: 1-line block ×3, first 2 shown]
	v_fma_f16 v39, v17, -0.5, v37
	v_add_f16_e32 v17, v33, v36
	v_add_f16_e32 v18, v35, v18
	v_fma_f16 v17, v17, -0.5, v37
	v_add_f16_e32 v18, v34, v18
	v_sub_f16_e32 v35, v35, v36
	v_add_f16_e32 v36, v33, v18
	v_sub_f16_e32 v18, v34, v33
	v_fma_f16 v33, v32, s6, v17
	v_fma_f16 v17, v32, s7, v17
	;; [unrolled: 1-line block ×4, first 2 shown]
	v_pack_b32_f16 v17, v33, v17
	v_fma_f16 v33, v31, s7, v39
	v_add_f16_e32 v18, v18, v35
	v_fma_f16 v33, v32, s10, v33
	v_fma_f16 v33, v38, s4, v33
	v_mul_f16_e32 v18, 0x34f2, v18
	v_pk_add_f16 v18, v18, v17 op_sel_hi:[0,1]
	v_pack_b32_f16 v17, v36, v33
	ds_write_b64 v41, v[17:18]
	v_fma_f16 v17, v31, s6, v39
	v_fma_f16 v17, v32, s5, v17
	v_sub_f16_e32 v18, v21, v20
	v_sub_f16_e32 v20, v27, v26
	;; [unrolled: 1-line block ×3, first 2 shown]
	v_fma_f16 v17, v38, s4, v17
	v_add_f16_e32 v20, v21, v20
	v_add_f16_e32 v21, v25, v26
	ds_write_b16 v41, v17 offset:8
	v_sub_f16_e32 v17, v23, v22
	v_fma_f16 v21, v21, -0.5, v28
	v_fma_f16 v22, v17, s7, v21
	v_fma_f16 v21, v17, s6, v21
	;; [unrolled: 1-line block ×4, first 2 shown]
	v_add_f16_e32 v23, v27, v28
	v_fma_f16 v22, v20, s4, v22
	v_fma_f16 v20, v20, s4, v21
	v_add_f16_e32 v21, v24, v27
	v_add_f16_e32 v23, v26, v23
	v_fma_f16 v21, v21, -0.5, v28
	v_add_f16_e32 v23, v25, v23
	v_sub_f16_e32 v26, v26, v27
	v_add_f16_e32 v23, v24, v23
	v_sub_f16_e32 v24, v25, v24
	v_fma_f16 v25, v18, s6, v21
	v_fma_f16 v18, v18, s7, v21
	v_add_f16_e32 v24, v24, v26
	v_fma_f16 v21, v17, s10, v25
	v_fma_f16 v17, v17, s5, v18
	v_mul_f16_e32 v24, 0x34f2, v24
	v_pack_b32_f16 v17, v21, v17
	v_pk_add_f16 v18, v24, v17 op_sel_hi:[0,1]
	v_pack_b32_f16 v17, v23, v22
	s_movk_i32 s0, 0xcd
	ds_write_b64 v44, v[17:18]
	ds_write_b16 v44, v20 offset:8
	v_mul_lo_u16_sdwa v17, v4, s0 dst_sel:DWORD dst_unused:UNUSED_PAD src0_sel:BYTE_0 src1_sel:DWORD
	v_lshrrev_b16_e32 v18, 10, v17
	v_mul_lo_u16_e32 v17, 5, v18
	v_sub_u16_e32 v20, v4, v17
	v_mov_b32_e32 v17, 4
	v_lshlrev_b32_sdwa v21, v17, v20 dst_sel:DWORD dst_unused:UNUSED_PAD src0_sel:DWORD src1_sel:BYTE_0
	s_waitcnt lgkmcnt(0)
	s_barrier
	global_load_dwordx4 v[21:24], v21, s[8:9]
	v_mul_lo_u16_sdwa v25, v5, s0 dst_sel:DWORD dst_unused:UNUSED_PAD src0_sel:BYTE_0 src1_sel:DWORD
	v_lshrrev_b16_e32 v35, 10, v25
	v_mul_lo_u16_e32 v25, 5, v35
	v_sub_u16_e32 v36, v5, v25
	v_lshlrev_b32_sdwa v25, v17, v36 dst_sel:DWORD dst_unused:UNUSED_PAD src0_sel:DWORD src1_sel:BYTE_0
	global_load_dwordx4 v[25:28], v25, s[8:9]
	s_mov_b32 s0, 0xcccd
	v_mul_u32_u24_sdwa v31, v8, s0 dst_sel:DWORD dst_unused:UNUSED_PAD src0_sel:WORD_0 src1_sel:DWORD
	v_lshrrev_b32_e32 v37, 18, v31
	v_mul_lo_u16_e32 v31, 5, v37
	v_sub_u16_e32 v38, v8, v31
	v_lshlrev_b32_e32 v31, 4, v38
	global_load_dwordx4 v[31:34], v31, s[8:9]
	ds_read_u16 v39, v9 offset:2000
	ds_read_u16 v40, v11
	ds_read_u16 v41, v9 offset:1250
	ds_read_u16 v44, v9 offset:2250
	;; [unrolled: 1-line block ×3, first 2 shown]
	ds_read_u16 v46, v10
	s_movk_i32 s0, 0x47af
	s_waitcnt vmcnt(2) lgkmcnt(4)
	v_mul_f16_sdwa v47, v40, v21 dst_sel:DWORD dst_unused:UNUSED_PAD src0_sel:DWORD src1_sel:WORD_1
	v_fma_f16 v47, v42, v21, -v47
	v_mul_f16_sdwa v42, v42, v21 dst_sel:DWORD dst_unused:UNUSED_PAD src0_sel:DWORD src1_sel:WORD_1
	v_fma_f16 v21, v40, v21, v42
	s_waitcnt lgkmcnt(1)
	v_mul_f16_sdwa v40, v45, v22 dst_sel:DWORD dst_unused:UNUSED_PAD src0_sel:DWORD src1_sel:WORD_1
	v_mul_f16_sdwa v42, v51, v22 dst_sel:DWORD dst_unused:UNUSED_PAD src0_sel:DWORD src1_sel:WORD_1
	v_fma_f16 v40, v51, v22, -v40
	v_fma_f16 v22, v45, v22, v42
	v_mul_f16_sdwa v42, v44, v23 dst_sel:DWORD dst_unused:UNUSED_PAD src0_sel:DWORD src1_sel:WORD_1
	v_mul_f16_sdwa v45, v48, v23 dst_sel:DWORD dst_unused:UNUSED_PAD src0_sel:DWORD src1_sel:WORD_1
	v_fma_f16 v42, v48, v23, -v42
	v_fma_f16 v23, v44, v23, v45
	ds_read_u16 v44, v13
	ds_read_u16 v45, v9 offset:3000
	ds_read_u16 v48, v9 offset:3250
	;; [unrolled: 1-line block ×3, first 2 shown]
	ds_read_u16 v51, v12
	ds_read_u16 v57, v9 offset:2750
	s_waitcnt lgkmcnt(4)
	v_mul_f16_sdwa v58, v45, v24 dst_sel:DWORD dst_unused:UNUSED_PAD src0_sel:DWORD src1_sel:WORD_1
	v_fma_f16 v58, v55, v24, -v58
	v_mul_f16_sdwa v55, v55, v24 dst_sel:DWORD dst_unused:UNUSED_PAD src0_sel:DWORD src1_sel:WORD_1
	v_fma_f16 v24, v45, v24, v55
	ds_read_u16 v45, v14
	ds_read_u16 v55, v9 offset:1750
	ds_read_u16 v59, v9 offset:2500
	s_waitcnt vmcnt(0) lgkmcnt(0)
	s_barrier
	v_mul_f16_sdwa v60, v45, v25 dst_sel:DWORD dst_unused:UNUSED_PAD src0_sel:DWORD src1_sel:WORD_1
	v_fma_f16 v60, v53, v25, -v60
	v_mul_f16_sdwa v53, v53, v25 dst_sel:DWORD dst_unused:UNUSED_PAD src0_sel:DWORD src1_sel:WORD_1
	v_fma_f16 v45, v45, v25, v53
	v_mul_f16_sdwa v25, v55, v26 dst_sel:DWORD dst_unused:UNUSED_PAD src0_sel:DWORD src1_sel:WORD_1
	v_fma_f16 v53, v50, v26, -v25
	v_mul_f16_sdwa v25, v50, v26 dst_sel:DWORD dst_unused:UNUSED_PAD src0_sel:DWORD src1_sel:WORD_1
	v_fma_f16 v50, v55, v26, v25
	;; [unrolled: 4-line block ×8, first 2 shown]
	v_sub_f16_e32 v25, v47, v40
	v_sub_f16_e32 v26, v58, v42
	v_add_f16_e32 v25, v25, v26
	v_add_f16_e32 v26, v40, v42
	v_fma_f16 v26, v26, -0.5, v19
	v_sub_f16_e32 v27, v21, v24
	v_fma_f16 v28, v27, s6, v26
	v_sub_f16_e32 v34, v22, v23
	v_fma_f16 v26, v27, s7, v26
	v_fma_f16 v28, v34, s5, v28
	;; [unrolled: 1-line block ×5, first 2 shown]
	v_sub_f16_e32 v26, v40, v47
	v_sub_f16_e32 v49, v42, v58
	v_add_f16_e32 v26, v26, v49
	v_add_f16_e32 v49, v47, v58
	v_fma_f16 v49, v49, -0.5, v19
	v_fma_f16 v52, v34, s7, v49
	v_fma_f16 v34, v34, s6, v49
	v_add_f16_e32 v19, v19, v47
	v_fma_f16 v49, v27, s5, v52
	v_fma_f16 v27, v27, s10, v34
	v_add_f16_e32 v19, v19, v40
	;; [unrolled: 3-line block ×3, first 2 shown]
	v_sub_f16_e32 v27, v47, v58
	v_sub_f16_e32 v40, v40, v42
	;; [unrolled: 1-line block ×4, first 2 shown]
	v_add_f16_e32 v42, v42, v47
	v_add_f16_e32 v47, v22, v23
	v_fma_f16 v47, v47, -0.5, v46
	v_fma_f16 v49, v27, s7, v47
	v_fma_f16 v47, v27, s6, v47
	;; [unrolled: 1-line block ×6, first 2 shown]
	v_add_f16_e32 v47, v21, v24
	v_fma_f16 v47, v47, -0.5, v46
	v_add_f16_e32 v46, v46, v21
	v_add_f16_e32 v46, v46, v22
	v_sub_f16_e32 v21, v22, v21
	v_add_f16_e32 v22, v46, v23
	v_add_f16_e32 v46, v22, v24
	v_sub_f16_e32 v22, v23, v24
	v_add_f16_e32 v21, v21, v22
	v_fma_f16 v22, v40, s6, v47
	v_fma_f16 v23, v40, s7, v47
	;; [unrolled: 1-line block ×6, first 2 shown]
	v_sub_f16_e32 v21, v60, v53
	v_sub_f16_e32 v22, v59, v55
	v_add_f16_e32 v21, v21, v22
	v_add_f16_e32 v22, v53, v55
	v_fma_f16 v22, v22, -0.5, v16
	v_sub_f16_e32 v23, v45, v48
	v_fma_f16 v24, v23, s6, v22
	v_sub_f16_e32 v27, v50, v43
	v_fma_f16 v22, v23, s7, v22
	v_fma_f16 v24, v27, s5, v24
	;; [unrolled: 1-line block ×5, first 2 shown]
	v_sub_f16_e32 v22, v53, v60
	v_sub_f16_e32 v52, v55, v59
	v_add_f16_e32 v22, v22, v52
	v_add_f16_e32 v52, v60, v59
	v_fma_f16 v52, v52, -0.5, v16
	v_fma_f16 v56, v27, s7, v52
	v_fma_f16 v27, v27, s6, v52
	;; [unrolled: 1-line block ×6, first 2 shown]
	v_sub_f16_e32 v23, v54, v41
	v_sub_f16_e32 v52, v39, v32
	v_add_f16_e32 v23, v23, v52
	v_add_f16_e32 v52, v41, v32
	v_fma_f16 v52, v52, -0.5, v3
	v_sub_f16_e32 v56, v31, v29
	v_add_f16_e32 v19, v19, v58
	v_fma_f16 v57, v56, s6, v52
	v_sub_f16_e32 v58, v30, v33
	v_fma_f16 v52, v56, s7, v52
	v_fma_f16 v57, v58, s5, v57
	v_fma_f16 v52, v58, s10, v52
	v_fma_f16 v57, v23, s4, v57
	v_fma_f16 v23, v23, s4, v52
	v_sub_f16_e32 v52, v41, v54
	v_sub_f16_e32 v61, v32, v39
	v_add_f16_e32 v52, v52, v61
	v_add_f16_e32 v61, v54, v39
	v_fma_f16 v61, v61, -0.5, v3
	v_fma_f16 v62, v58, s7, v61
	v_fma_f16 v58, v58, s6, v61
	;; [unrolled: 1-line block ×6, first 2 shown]
	v_mad_u32_u24 v56, v18, 50, 0
	v_mov_b32_e32 v18, 1
	v_lshlrev_b32_sdwa v20, v18, v20 dst_sel:DWORD dst_unused:UNUSED_PAD src0_sel:DWORD src1_sel:BYTE_0
	v_add_f16_e32 v16, v16, v60
	v_add3_u32 v56, v56, v20, v2
	v_add_f16_e32 v16, v16, v53
	ds_write_b16 v56, v19
	ds_write_b16 v56, v28 offset:10
	ds_write_b16 v56, v34 offset:20
	;; [unrolled: 1-line block ×4, first 2 shown]
	v_mad_u32_u24 v19, v35, 50, 0
	v_lshlrev_b32_sdwa v20, v18, v36 dst_sel:DWORD dst_unused:UNUSED_PAD src0_sel:DWORD src1_sel:BYTE_0
	v_add_f16_e32 v16, v16, v55
	v_add_f16_e32 v3, v3, v54
	v_add3_u32 v34, v19, v20, v2
	v_add_f16_e32 v16, v16, v59
	v_add_f16_e32 v3, v3, v41
	ds_write_b16 v34, v16
	ds_write_b16 v34, v24 offset:10
	ds_write_b16 v34, v27 offset:20
	;; [unrolled: 1-line block ×4, first 2 shown]
	v_mad_u32_u24 v16, v37, 50, 0
	v_lshlrev_b32_e32 v19, 1, v38
	v_add_f16_e32 v3, v3, v32
	v_add3_u32 v35, v16, v19, v2
	v_add_f16_e32 v3, v3, v39
	ds_write_b16 v35, v3
	ds_write_b16 v35, v57 offset:10
	ds_write_b16 v35, v58 offset:20
	;; [unrolled: 1-line block ×4, first 2 shown]
	s_waitcnt lgkmcnt(0)
	s_barrier
	ds_read_u16 v19, v10
	ds_read_u16 v52, v11
	;; [unrolled: 1-line block ×3, first 2 shown]
	ds_read_u16 v24, v9 offset:2500
	ds_read_u16 v57, v9 offset:2250
	ds_read_u16 v21, v9 offset:2000
	ds_read_u16 v26, v9 offset:1750
	ds_read_u16 v58, v9 offset:1500
	ds_read_u16 v23, v9 offset:1250
	ds_read_u16 v27, v14
	ds_read_u16 v16, v12
	ds_read_u16 v20, v9 offset:3500
	ds_read_u16 v25, v9 offset:3250
	ds_read_u16 v28, v9 offset:3000
	ds_read_u16 v22, v9 offset:2750
	s_waitcnt lgkmcnt(0)
	s_barrier
	ds_write_b16 v56, v46
	ds_write_b16 v56, v49 offset:10
	ds_write_b16 v56, v40 offset:20
	;; [unrolled: 1-line block ×4, first 2 shown]
	v_sub_f16_e32 v38, v45, v50
	v_sub_f16_e32 v40, v48, v43
	v_add_f16_e32 v38, v38, v40
	v_add_f16_e32 v40, v50, v43
	v_sub_f16_e32 v36, v60, v59
	v_fma_f16 v40, v40, -0.5, v51
	v_sub_f16_e32 v37, v53, v55
	v_fma_f16 v42, v36, s7, v40
	v_fma_f16 v40, v36, s6, v40
	v_fma_f16 v42, v37, s10, v42
	v_fma_f16 v40, v37, s5, v40
	v_add_f16_e32 v46, v51, v45
	v_fma_f16 v42, v38, s4, v42
	v_fma_f16 v38, v38, s4, v40
	v_add_f16_e32 v40, v45, v48
	v_add_f16_e32 v46, v46, v50
	v_fma_f16 v40, v40, -0.5, v51
	v_sub_f16_e32 v45, v50, v45
	v_add_f16_e32 v46, v46, v43
	v_sub_f16_e32 v43, v43, v48
	v_add_f16_e32 v43, v45, v43
	v_fma_f16 v45, v37, s6, v40
	v_fma_f16 v37, v37, s7, v40
	;; [unrolled: 1-line block ×4, first 2 shown]
	v_add_f16_e32 v46, v46, v48
	v_fma_f16 v37, v43, s4, v40
	v_fma_f16 v36, v43, s4, v36
	ds_write_b16 v34, v46
	ds_write_b16 v34, v42 offset:10
	ds_write_b16 v34, v37 offset:20
	;; [unrolled: 1-line block ×4, first 2 shown]
	v_sub_f16_e32 v36, v31, v30
	v_sub_f16_e32 v37, v29, v33
	v_add_f16_e32 v36, v36, v37
	v_add_f16_e32 v37, v30, v33
	v_sub_f16_e32 v34, v54, v39
	v_fma_f16 v37, v37, -0.5, v44
	v_sub_f16_e32 v32, v41, v32
	v_fma_f16 v38, v34, s7, v37
	v_fma_f16 v37, v34, s6, v37
	v_add_f16_e32 v39, v44, v31
	v_fma_f16 v38, v32, s10, v38
	v_fma_f16 v37, v32, s5, v37
	v_add_f16_e32 v39, v39, v30
	;; [unrolled: 3-line block ×3, first 2 shown]
	v_sub_f16_e32 v30, v30, v31
	v_add_f16_e32 v31, v39, v33
	v_fma_f16 v37, v37, -0.5, v44
	v_add_f16_e32 v31, v31, v29
	v_sub_f16_e32 v29, v33, v29
	v_add_f16_e32 v29, v30, v29
	v_fma_f16 v30, v32, s6, v37
	v_fma_f16 v32, v32, s7, v37
	;; [unrolled: 1-line block ×6, first 2 shown]
	v_mov_b32_e32 v33, 41
	ds_write_b16 v35, v31
	ds_write_b16 v35, v38 offset:10
	ds_write_b16 v35, v30 offset:20
	;; [unrolled: 1-line block ×4, first 2 shown]
	v_mul_lo_u16_sdwa v29, v4, v33 dst_sel:DWORD dst_unused:UNUSED_PAD src0_sel:BYTE_0 src1_sel:DWORD
	v_lshrrev_b16_e32 v41, 10, v29
	v_mul_lo_u16_e32 v29, 25, v41
	v_sub_u16_e32 v42, v4, v29
	v_lshlrev_b32_sdwa v29, v17, v42 dst_sel:DWORD dst_unused:UNUSED_PAD src0_sel:DWORD src1_sel:BYTE_0
	s_waitcnt lgkmcnt(0)
	s_barrier
	global_load_dwordx4 v[29:32], v29, s[8:9] offset:80
	v_mul_lo_u16_sdwa v33, v5, v33 dst_sel:DWORD dst_unused:UNUSED_PAD src0_sel:BYTE_0 src1_sel:DWORD
	v_lshrrev_b16_e32 v43, 10, v33
	v_mul_lo_u16_e32 v33, 25, v43
	v_sub_u16_e32 v44, v5, v33
	v_lshlrev_b32_sdwa v17, v17, v44 dst_sel:DWORD dst_unused:UNUSED_PAD src0_sel:DWORD src1_sel:BYTE_0
	global_load_dwordx4 v[33:36], v17, s[8:9] offset:80
	v_mul_u32_u24_sdwa v17, v8, s0 dst_sel:DWORD dst_unused:UNUSED_PAD src0_sel:WORD_0 src1_sel:DWORD
	v_sub_u16_sdwa v37, v8, v17 dst_sel:DWORD dst_unused:UNUSED_PAD src0_sel:DWORD src1_sel:WORD_1
	v_lshrrev_b16_e32 v37, 1, v37
	v_add_u16_sdwa v17, v37, v17 dst_sel:DWORD dst_unused:UNUSED_PAD src0_sel:DWORD src1_sel:WORD_1
	v_lshrrev_b16_e32 v17, 4, v17
	v_mul_lo_u16_e32 v37, 25, v17
	v_sub_u16_e32 v45, v8, v37
	v_lshlrev_b32_e32 v37, 4, v45
	global_load_dwordx4 v[37:40], v37, s[8:9] offset:80
	ds_read_u16 v46, v9 offset:2000
	ds_read_u16 v47, v11
	ds_read_u16 v48, v9 offset:1250
	ds_read_u16 v49, v9 offset:2250
	;; [unrolled: 1-line block ×3, first 2 shown]
	ds_read_u16 v51, v10
	s_movk_i32 s0, 0xfa
	v_mad_u32_u24 v17, v17, s0, 0
	s_waitcnt vmcnt(2) lgkmcnt(4)
	v_mul_f16_sdwa v53, v47, v29 dst_sel:DWORD dst_unused:UNUSED_PAD src0_sel:DWORD src1_sel:WORD_1
	v_fma_f16 v53, v52, v29, -v53
	v_mul_f16_sdwa v52, v52, v29 dst_sel:DWORD dst_unused:UNUSED_PAD src0_sel:DWORD src1_sel:WORD_1
	v_fma_f16 v29, v47, v29, v52
	s_waitcnt lgkmcnt(1)
	v_mul_f16_sdwa v47, v50, v30 dst_sel:DWORD dst_unused:UNUSED_PAD src0_sel:DWORD src1_sel:WORD_1
	v_mul_f16_sdwa v52, v58, v30 dst_sel:DWORD dst_unused:UNUSED_PAD src0_sel:DWORD src1_sel:WORD_1
	v_fma_f16 v47, v58, v30, -v47
	v_fma_f16 v30, v50, v30, v52
	v_mul_f16_sdwa v50, v49, v31 dst_sel:DWORD dst_unused:UNUSED_PAD src0_sel:DWORD src1_sel:WORD_1
	v_mul_f16_sdwa v52, v57, v31 dst_sel:DWORD dst_unused:UNUSED_PAD src0_sel:DWORD src1_sel:WORD_1
	v_fma_f16 v50, v57, v31, -v50
	v_fma_f16 v31, v49, v31, v52
	ds_read_u16 v49, v13
	ds_read_u16 v52, v9 offset:3000
	ds_read_u16 v54, v9 offset:3250
	ds_read_u16 v55, v9 offset:3500
	ds_read_u16 v56, v12
	ds_read_u16 v57, v9 offset:2750
	s_waitcnt lgkmcnt(4)
	v_mul_f16_sdwa v58, v52, v32 dst_sel:DWORD dst_unused:UNUSED_PAD src0_sel:DWORD src1_sel:WORD_1
	v_fma_f16 v58, v28, v32, -v58
	v_mul_f16_sdwa v28, v28, v32 dst_sel:DWORD dst_unused:UNUSED_PAD src0_sel:DWORD src1_sel:WORD_1
	v_fma_f16 v28, v52, v32, v28
	ds_read_u16 v32, v14
	ds_read_u16 v52, v9 offset:1750
	ds_read_u16 v59, v9 offset:2500
	s_waitcnt vmcnt(0) lgkmcnt(0)
	s_barrier
	v_mul_f16_sdwa v60, v32, v33 dst_sel:DWORD dst_unused:UNUSED_PAD src0_sel:DWORD src1_sel:WORD_1
	v_fma_f16 v60, v27, v33, -v60
	v_mul_f16_sdwa v27, v27, v33 dst_sel:DWORD dst_unused:UNUSED_PAD src0_sel:DWORD src1_sel:WORD_1
	v_fma_f16 v27, v32, v33, v27
	v_mul_f16_sdwa v32, v52, v34 dst_sel:DWORD dst_unused:UNUSED_PAD src0_sel:DWORD src1_sel:WORD_1
	v_fma_f16 v32, v26, v34, -v32
	v_mul_f16_sdwa v26, v26, v34 dst_sel:DWORD dst_unused:UNUSED_PAD src0_sel:DWORD src1_sel:WORD_1
	v_fma_f16 v26, v52, v34, v26
	v_mul_f16_sdwa v33, v59, v35 dst_sel:DWORD dst_unused:UNUSED_PAD src0_sel:DWORD src1_sel:WORD_1
	v_mul_f16_sdwa v34, v54, v36 dst_sel:DWORD dst_unused:UNUSED_PAD src0_sel:DWORD src1_sel:WORD_1
	v_fma_f16 v33, v24, v35, -v33
	v_mul_f16_sdwa v24, v24, v35 dst_sel:DWORD dst_unused:UNUSED_PAD src0_sel:DWORD src1_sel:WORD_1
	v_fma_f16 v34, v25, v36, -v34
	v_mul_f16_sdwa v25, v25, v36 dst_sel:DWORD dst_unused:UNUSED_PAD src0_sel:DWORD src1_sel:WORD_1
	v_fma_f16 v24, v59, v35, v24
	v_fma_f16 v25, v54, v36, v25
	v_mul_f16_sdwa v35, v48, v37 dst_sel:DWORD dst_unused:UNUSED_PAD src0_sel:DWORD src1_sel:WORD_1
	v_mul_f16_sdwa v36, v46, v38 dst_sel:DWORD dst_unused:UNUSED_PAD src0_sel:DWORD src1_sel:WORD_1
	v_fma_f16 v35, v23, v37, -v35
	v_mul_f16_sdwa v23, v23, v37 dst_sel:DWORD dst_unused:UNUSED_PAD src0_sel:DWORD src1_sel:WORD_1
	v_fma_f16 v36, v21, v38, -v36
	v_mul_f16_sdwa v21, v21, v38 dst_sel:DWORD dst_unused:UNUSED_PAD src0_sel:DWORD src1_sel:WORD_1
	v_fma_f16 v23, v48, v37, v23
	;; [unrolled: 8-line block ×3, first 2 shown]
	v_fma_f16 v20, v55, v40, v20
	v_mad_u32_u24 v39, v41, s0, 0
	v_lshlrev_b32_sdwa v40, v18, v42 dst_sel:DWORD dst_unused:UNUSED_PAD src0_sel:DWORD src1_sel:BYTE_0
	v_add3_u32 v39, v39, v40, v2
	v_lshlrev_b32_sdwa v18, v18, v44 dst_sel:DWORD dst_unused:UNUSED_PAD src0_sel:DWORD src1_sel:BYTE_0
	v_mad_u32_u24 v40, v43, s0, 0
	v_add3_u32 v40, v40, v18, v2
	v_lshlrev_b32_e32 v18, 1, v45
	v_add3_u32 v2, v17, v18, v2
	v_sub_f16_e32 v17, v53, v47
	v_sub_f16_e32 v18, v58, v50
	v_add_f16_e32 v17, v17, v18
	v_add_f16_e32 v18, v47, v50
	v_fma_f16 v18, v18, -0.5, v19
	v_sub_f16_e32 v41, v29, v28
	v_fma_f16 v42, v41, s6, v18
	v_sub_f16_e32 v43, v30, v31
	v_fma_f16 v18, v41, s7, v18
	v_fma_f16 v42, v43, s5, v42
	;; [unrolled: 1-line block ×5, first 2 shown]
	v_sub_f16_e32 v18, v47, v53
	v_sub_f16_e32 v44, v50, v58
	v_add_f16_e32 v18, v18, v44
	v_add_f16_e32 v44, v53, v58
	v_fma_f16 v44, v44, -0.5, v19
	v_fma_f16 v45, v43, s7, v44
	v_fma_f16 v43, v43, s6, v44
	;; [unrolled: 1-line block ×3, first 2 shown]
	v_sub_f16_e32 v45, v29, v30
	v_sub_f16_e32 v46, v28, v31
	v_fma_f16 v41, v41, s10, v43
	v_add_f16_e32 v45, v45, v46
	v_add_f16_e32 v46, v30, v31
	v_fma_f16 v43, v18, s4, v44
	v_fma_f16 v18, v18, s4, v41
	v_add_f16_e32 v19, v19, v53
	v_sub_f16_e32 v41, v53, v58
	v_fma_f16 v46, v46, -0.5, v51
	v_add_f16_e32 v19, v19, v47
	v_sub_f16_e32 v44, v47, v50
	v_fma_f16 v47, v41, s7, v46
	v_fma_f16 v46, v41, s6, v46
	v_add_f16_e32 v48, v51, v29
	v_fma_f16 v47, v44, s10, v47
	v_fma_f16 v46, v44, s5, v46
	v_add_f16_e32 v48, v48, v30
	;; [unrolled: 3-line block ×3, first 2 shown]
	v_sub_f16_e32 v29, v30, v29
	v_add_f16_e32 v30, v48, v31
	v_fma_f16 v46, v46, -0.5, v51
	v_add_f16_e32 v30, v30, v28
	v_sub_f16_e32 v28, v31, v28
	v_add_f16_e32 v28, v29, v28
	v_fma_f16 v29, v44, s6, v46
	v_fma_f16 v31, v44, s7, v46
	;; [unrolled: 1-line block ×6, first 2 shown]
	v_sub_f16_e32 v31, v60, v32
	v_sub_f16_e32 v41, v34, v33
	v_add_f16_e32 v31, v31, v41
	v_add_f16_e32 v41, v32, v33
	v_fma_f16 v41, v41, -0.5, v16
	v_sub_f16_e32 v44, v27, v25
	v_fma_f16 v46, v44, s6, v41
	v_sub_f16_e32 v48, v26, v24
	v_fma_f16 v41, v44, s7, v41
	v_fma_f16 v46, v48, s5, v46
	;; [unrolled: 1-line block ×3, first 2 shown]
	v_add_f16_e32 v19, v19, v50
	v_fma_f16 v46, v31, s4, v46
	v_fma_f16 v31, v31, s4, v41
	v_sub_f16_e32 v41, v32, v60
	v_sub_f16_e32 v50, v33, v34
	v_add_f16_e32 v41, v41, v50
	v_add_f16_e32 v50, v60, v34
	v_fma_f16 v50, v50, -0.5, v16
	v_fma_f16 v51, v48, s7, v50
	v_fma_f16 v48, v48, s6, v50
	;; [unrolled: 1-line block ×6, first 2 shown]
	v_sub_f16_e32 v44, v35, v36
	v_sub_f16_e32 v50, v38, v37
	v_add_f16_e32 v44, v44, v50
	v_add_f16_e32 v50, v36, v37
	v_fma_f16 v50, v50, -0.5, v3
	v_sub_f16_e32 v51, v23, v20
	v_fma_f16 v52, v51, s6, v50
	v_sub_f16_e32 v53, v21, v22
	v_fma_f16 v50, v51, s7, v50
	v_fma_f16 v52, v53, s5, v52
	;; [unrolled: 1-line block ×5, first 2 shown]
	v_sub_f16_e32 v50, v36, v35
	v_sub_f16_e32 v54, v37, v38
	v_add_f16_e32 v50, v50, v54
	v_add_f16_e32 v54, v35, v38
	v_fma_f16 v54, v54, -0.5, v3
	v_add_f16_e32 v16, v16, v60
	v_add_f16_e32 v3, v3, v35
	v_fma_f16 v55, v53, s7, v54
	v_fma_f16 v53, v53, s6, v54
	v_add_f16_e32 v16, v16, v32
	v_add_f16_e32 v3, v3, v36
	v_fma_f16 v54, v51, s5, v55
	v_fma_f16 v51, v51, s10, v53
	v_add_f16_e32 v16, v16, v33
	v_add_f16_e32 v3, v3, v37
	;; [unrolled: 1-line block ×3, first 2 shown]
	v_fma_f16 v53, v50, s4, v54
	v_fma_f16 v50, v50, s4, v51
	v_add_f16_e32 v16, v16, v34
	v_add_f16_e32 v3, v3, v38
	ds_write_b16 v39, v19
	ds_write_b16 v39, v42 offset:50
	ds_write_b16 v39, v43 offset:100
	ds_write_b16 v39, v18 offset:150
	ds_write_b16 v39, v17 offset:200
	ds_write_b16 v40, v16
	ds_write_b16 v40, v46 offset:50
	ds_write_b16 v40, v48 offset:100
	ds_write_b16 v40, v41 offset:150
	ds_write_b16 v40, v31 offset:200
	;; [unrolled: 5-line block ×3, first 2 shown]
	s_waitcnt lgkmcnt(0)
	s_barrier
	ds_read_u16 v18, v10
	ds_read_u16 v31, v11
	;; [unrolled: 1-line block ×3, first 2 shown]
	ds_read_u16 v41, v9 offset:2500
	ds_read_u16 v42, v9 offset:2250
	;; [unrolled: 1-line block ×6, first 2 shown]
	ds_read_u16 v50, v14
	ds_read_u16 v17, v12
	ds_read_u16 v51, v9 offset:3500
	ds_read_u16 v52, v9 offset:3250
	;; [unrolled: 1-line block ×4, first 2 shown]
	s_waitcnt lgkmcnt(0)
	s_barrier
	ds_write_b16 v39, v30
	ds_write_b16 v39, v47 offset:50
	ds_write_b16 v39, v29 offset:100
	;; [unrolled: 1-line block ×4, first 2 shown]
	v_sub_f16_e32 v28, v27, v26
	v_sub_f16_e32 v29, v25, v24
	v_add_f16_e32 v28, v28, v29
	v_add_f16_e32 v29, v26, v24
	v_sub_f16_e32 v3, v60, v34
	v_fma_f16 v29, v29, -0.5, v56
	v_sub_f16_e32 v19, v32, v33
	v_fma_f16 v30, v3, s7, v29
	v_fma_f16 v29, v3, s6, v29
	;; [unrolled: 1-line block ×4, first 2 shown]
	v_add_f16_e32 v32, v56, v27
	v_fma_f16 v30, v28, s4, v30
	v_fma_f16 v28, v28, s4, v29
	v_add_f16_e32 v29, v27, v25
	v_add_f16_e32 v32, v32, v26
	v_fma_f16 v29, v29, -0.5, v56
	v_sub_f16_e32 v26, v26, v27
	v_add_f16_e32 v27, v32, v24
	v_sub_f16_e32 v24, v24, v25
	v_add_f16_e32 v27, v27, v25
	v_add_f16_e32 v24, v26, v24
	v_fma_f16 v25, v19, s6, v29
	v_fma_f16 v19, v19, s7, v29
	v_sub_f16_e32 v26, v23, v21
	v_sub_f16_e32 v29, v20, v22
	v_fma_f16 v25, v3, s10, v25
	v_fma_f16 v3, v3, s5, v19
	v_add_f16_e32 v26, v26, v29
	v_add_f16_e32 v29, v21, v22
	v_fma_f16 v19, v24, s4, v25
	v_fma_f16 v3, v24, s4, v3
	v_sub_f16_e32 v24, v35, v38
	v_fma_f16 v29, v29, -0.5, v49
	v_sub_f16_e32 v25, v36, v37
	v_fma_f16 v32, v24, s7, v29
	v_fma_f16 v29, v24, s6, v29
	v_add_f16_e32 v33, v49, v23
	v_fma_f16 v32, v25, s10, v32
	v_fma_f16 v29, v25, s5, v29
	v_add_f16_e32 v33, v33, v21
	v_fma_f16 v32, v26, s4, v32
	v_fma_f16 v26, v26, s4, v29
	v_add_f16_e32 v29, v23, v20
	v_sub_f16_e32 v21, v21, v23
	v_add_f16_e32 v23, v33, v22
	v_fma_f16 v29, v29, -0.5, v49
	v_add_f16_e32 v23, v23, v20
	v_sub_f16_e32 v20, v22, v20
	v_add_f16_e32 v20, v21, v20
	v_fma_f16 v21, v25, s6, v29
	v_fma_f16 v22, v25, s7, v29
	;; [unrolled: 1-line block ×6, first 2 shown]
	ds_write_b16 v40, v27
	ds_write_b16 v40, v30 offset:50
	ds_write_b16 v40, v19 offset:100
	;; [unrolled: 1-line block ×4, first 2 shown]
	ds_write_b16 v2, v23
	ds_write_b16 v2, v32 offset:50
	ds_write_b16 v2, v21 offset:100
	;; [unrolled: 1-line block ×4, first 2 shown]
	v_lshlrev_b32_e32 v2, 2, v4
	v_mov_b32_e32 v3, 0
	v_lshlrev_b64 v[19:20], 2, v[2:3]
	v_mov_b32_e32 v2, s9
	v_add_co_u32_e64 v19, s[0:1], s8, v19
	v_addc_co_u32_e64 v20, s[0:1], v2, v20, s[0:1]
	s_waitcnt lgkmcnt(0)
	s_barrier
	global_load_dwordx4 v[19:22], v[19:20], off offset:480
	s_movk_i32 s0, 0x625
	v_mul_u32_u24_sdwa v2, v8, s0 dst_sel:DWORD dst_unused:UNUSED_PAD src0_sel:WORD_0 src1_sel:DWORD
	v_sub_u16_sdwa v23, v8, v2 dst_sel:DWORD dst_unused:UNUSED_PAD src0_sel:DWORD src1_sel:WORD_1
	v_lshrrev_b16_e32 v23, 1, v23
	v_add_u16_sdwa v2, v23, v2 dst_sel:DWORD dst_unused:UNUSED_PAD src0_sel:DWORD src1_sel:WORD_1
	v_lshrrev_b16_e32 v2, 6, v2
	v_mul_lo_u16_e32 v2, 0x7d, v2
	v_sub_u16_e32 v2, v8, v2
	v_lshlrev_b32_e32 v23, 4, v2
	global_load_dwordx4 v[23:26], v23, s[8:9] offset:480
	ds_read_u16 v27, v9 offset:2000
	ds_read_u16 v28, v11
	ds_read_u16 v29, v9 offset:1250
	ds_read_u16 v30, v9 offset:2500
	;; [unrolled: 1-line block ×5, first 2 shown]
	ds_read_u16 v35, v10
	v_lshl_add_u32 v2, v2, 1, v15
	s_waitcnt vmcnt(1) lgkmcnt(6)
	v_mul_f16_sdwa v36, v28, v19 dst_sel:DWORD dst_unused:UNUSED_PAD src0_sel:DWORD src1_sel:WORD_1
	v_fma_f16 v36, v31, v19, -v36
	v_mul_f16_sdwa v31, v31, v19 dst_sel:DWORD dst_unused:UNUSED_PAD src0_sel:DWORD src1_sel:WORD_1
	v_mul_f16_sdwa v37, v46, v20 dst_sel:DWORD dst_unused:UNUSED_PAD src0_sel:DWORD src1_sel:WORD_1
	v_fma_f16 v28, v28, v19, v31
	s_waitcnt lgkmcnt(1)
	v_mul_f16_sdwa v31, v34, v20 dst_sel:DWORD dst_unused:UNUSED_PAD src0_sel:DWORD src1_sel:WORD_1
	v_fma_f16 v34, v34, v20, v37
	v_mul_f16_sdwa v37, v32, v21 dst_sel:DWORD dst_unused:UNUSED_PAD src0_sel:DWORD src1_sel:WORD_1
	v_mul_f16_sdwa v38, v42, v21 dst_sel:DWORD dst_unused:UNUSED_PAD src0_sel:DWORD src1_sel:WORD_1
	v_fma_f16 v31, v46, v20, -v31
	v_fma_f16 v37, v42, v21, -v37
	v_fma_f16 v32, v32, v21, v38
	ds_read_u16 v38, v13
	ds_read_u16 v39, v9 offset:3000
	ds_read_u16 v40, v9 offset:3250
	;; [unrolled: 1-line block ×3, first 2 shown]
	ds_read_u16 v45, v14
	ds_read_u16 v46, v12
	ds_read_u16 v47, v9 offset:2750
	s_waitcnt lgkmcnt(5)
	v_mul_f16_sdwa v49, v39, v22 dst_sel:DWORD dst_unused:UNUSED_PAD src0_sel:DWORD src1_sel:WORD_1
	v_fma_f16 v49, v53, v22, -v49
	v_mul_f16_sdwa v53, v53, v22 dst_sel:DWORD dst_unused:UNUSED_PAD src0_sel:DWORD src1_sel:WORD_1
	v_fma_f16 v39, v39, v22, v53
	s_waitcnt lgkmcnt(2)
	v_mul_f16_sdwa v53, v45, v19 dst_sel:DWORD dst_unused:UNUSED_PAD src0_sel:DWORD src1_sel:WORD_1
	v_fma_f16 v53, v50, v19, -v53
	v_mul_f16_sdwa v50, v50, v19 dst_sel:DWORD dst_unused:UNUSED_PAD src0_sel:DWORD src1_sel:WORD_1
	v_fma_f16 v19, v45, v19, v50
	v_mul_f16_sdwa v45, v33, v20 dst_sel:DWORD dst_unused:UNUSED_PAD src0_sel:DWORD src1_sel:WORD_1
	v_fma_f16 v45, v44, v20, -v45
	v_mul_f16_sdwa v44, v44, v20 dst_sel:DWORD dst_unused:UNUSED_PAD src0_sel:DWORD src1_sel:WORD_1
	v_fma_f16 v20, v33, v20, v44
	;; [unrolled: 4-line block ×3, first 2 shown]
	v_mul_f16_sdwa v30, v40, v22 dst_sel:DWORD dst_unused:UNUSED_PAD src0_sel:DWORD src1_sel:WORD_1
	v_mul_f16_sdwa v41, v52, v22 dst_sel:DWORD dst_unused:UNUSED_PAD src0_sel:DWORD src1_sel:WORD_1
	v_fma_f16 v30, v52, v22, -v30
	v_fma_f16 v22, v40, v22, v41
	s_waitcnt vmcnt(0)
	v_mul_f16_sdwa v40, v29, v23 dst_sel:DWORD dst_unused:UNUSED_PAD src0_sel:DWORD src1_sel:WORD_1
	v_mul_f16_sdwa v41, v48, v23 dst_sel:DWORD dst_unused:UNUSED_PAD src0_sel:DWORD src1_sel:WORD_1
	v_fma_f16 v40, v48, v23, -v40
	v_fma_f16 v23, v29, v23, v41
	v_mul_f16_sdwa v29, v27, v24 dst_sel:DWORD dst_unused:UNUSED_PAD src0_sel:DWORD src1_sel:WORD_1
	v_mul_f16_sdwa v41, v43, v24 dst_sel:DWORD dst_unused:UNUSED_PAD src0_sel:DWORD src1_sel:WORD_1
	v_fma_f16 v29, v43, v24, -v29
	v_fma_f16 v24, v27, v24, v41
	s_waitcnt lgkmcnt(0)
	v_mul_f16_sdwa v27, v47, v25 dst_sel:DWORD dst_unused:UNUSED_PAD src0_sel:DWORD src1_sel:WORD_1
	v_mul_f16_sdwa v41, v54, v25 dst_sel:DWORD dst_unused:UNUSED_PAD src0_sel:DWORD src1_sel:WORD_1
	v_fma_f16 v27, v54, v25, -v27
	v_fma_f16 v25, v47, v25, v41
	v_mul_f16_sdwa v41, v42, v26 dst_sel:DWORD dst_unused:UNUSED_PAD src0_sel:DWORD src1_sel:WORD_1
	v_mul_f16_sdwa v43, v51, v26 dst_sel:DWORD dst_unused:UNUSED_PAD src0_sel:DWORD src1_sel:WORD_1
	v_fma_f16 v41, v51, v26, -v41
	v_fma_f16 v26, v42, v26, v43
	v_sub_f16_e32 v42, v36, v31
	v_sub_f16_e32 v43, v49, v37
	v_add_f16_e32 v42, v42, v43
	v_add_f16_e32 v43, v31, v37
	v_fma_f16 v43, v43, -0.5, v18
	v_sub_f16_e32 v44, v28, v39
	v_fma_f16 v47, v44, s6, v43
	v_sub_f16_e32 v48, v34, v32
	v_fma_f16 v43, v44, s7, v43
	v_fma_f16 v47, v48, s5, v47
	;; [unrolled: 1-line block ×5, first 2 shown]
	v_sub_f16_e32 v43, v31, v36
	v_sub_f16_e32 v50, v37, v49
	v_add_f16_e32 v43, v43, v50
	v_add_f16_e32 v50, v36, v49
	v_fma_f16 v50, v50, -0.5, v18
	v_fma_f16 v51, v48, s7, v50
	v_fma_f16 v48, v48, s6, v50
	v_add_f16_e32 v18, v18, v36
	v_fma_f16 v50, v44, s5, v51
	v_fma_f16 v44, v44, s10, v48
	v_add_f16_e32 v18, v18, v31
	v_fma_f16 v48, v43, s4, v50
	v_fma_f16 v43, v43, s4, v44
	v_add_f16_e32 v18, v18, v37
	v_sub_f16_e32 v31, v31, v37
	v_sub_f16_e32 v37, v28, v34
	;; [unrolled: 1-line block ×3, first 2 shown]
	v_add_f16_e32 v37, v37, v44
	v_add_f16_e32 v44, v34, v32
	v_sub_f16_e32 v36, v36, v49
	v_fma_f16 v44, v44, -0.5, v35
	v_add_f16_e32 v18, v18, v49
	v_fma_f16 v49, v36, s7, v44
	v_fma_f16 v44, v36, s6, v44
	;; [unrolled: 1-line block ×6, first 2 shown]
	v_add_f16_e32 v44, v28, v39
	v_fma_f16 v44, v44, -0.5, v35
	v_add_f16_e32 v35, v35, v28
	v_add_f16_e32 v35, v35, v34
	v_sub_f16_e32 v28, v34, v28
	v_add_f16_e32 v34, v35, v32
	v_sub_f16_e32 v32, v32, v39
	v_add_f16_e32 v28, v28, v32
	v_fma_f16 v32, v31, s6, v44
	v_fma_f16 v31, v31, s7, v44
	;; [unrolled: 1-line block ×6, first 2 shown]
	v_sub_f16_e32 v28, v53, v45
	v_sub_f16_e32 v35, v30, v33
	v_add_f16_e32 v28, v28, v35
	v_add_f16_e32 v35, v45, v33
	v_fma_f16 v35, v35, -0.5, v17
	v_sub_f16_e32 v36, v19, v22
	v_add_f16_e32 v34, v34, v39
	v_fma_f16 v39, v36, s6, v35
	v_sub_f16_e32 v44, v20, v21
	v_fma_f16 v35, v36, s7, v35
	v_fma_f16 v39, v44, s5, v39
	;; [unrolled: 1-line block ×5, first 2 shown]
	v_sub_f16_e32 v35, v45, v53
	v_sub_f16_e32 v50, v33, v30
	v_add_f16_e32 v35, v35, v50
	v_add_f16_e32 v50, v53, v30
	v_fma_f16 v50, v50, -0.5, v17
	v_fma_f16 v51, v44, s7, v50
	v_fma_f16 v44, v44, s6, v50
	v_add_f16_e32 v17, v17, v53
	v_fma_f16 v50, v36, s5, v51
	v_fma_f16 v36, v36, s10, v44
	v_add_f16_e32 v17, v17, v45
	;; [unrolled: 3-line block ×3, first 2 shown]
	v_sub_f16_e32 v33, v45, v33
	v_sub_f16_e32 v36, v19, v20
	;; [unrolled: 1-line block ×3, first 2 shown]
	v_add_f16_e32 v36, v36, v45
	v_add_f16_e32 v45, v20, v21
	;; [unrolled: 1-line block ×3, first 2 shown]
	v_sub_f16_e32 v30, v53, v30
	v_fma_f16 v45, v45, -0.5, v46
	v_fma_f16 v50, v30, s7, v45
	v_fma_f16 v45, v30, s6, v45
	;; [unrolled: 1-line block ×6, first 2 shown]
	v_add_f16_e32 v45, v19, v22
	v_fma_f16 v45, v45, -0.5, v46
	v_add_f16_e32 v46, v46, v19
	v_add_f16_e32 v46, v46, v20
	v_sub_f16_e32 v19, v20, v19
	v_add_f16_e32 v20, v46, v21
	v_add_f16_e32 v46, v20, v22
	v_sub_f16_e32 v20, v21, v22
	v_add_f16_e32 v19, v19, v20
	v_fma_f16 v20, v33, s6, v45
	v_fma_f16 v21, v33, s7, v45
	;; [unrolled: 1-line block ×6, first 2 shown]
	v_sub_f16_e32 v19, v40, v29
	v_sub_f16_e32 v20, v41, v27
	v_add_f16_e32 v19, v19, v20
	v_add_f16_e32 v20, v29, v27
	v_fma_f16 v20, v20, -0.5, v16
	v_sub_f16_e32 v21, v23, v26
	v_fma_f16 v22, v21, s6, v20
	v_sub_f16_e32 v45, v24, v25
	v_fma_f16 v20, v21, s7, v20
	v_fma_f16 v22, v45, s5, v22
	;; [unrolled: 1-line block ×5, first 2 shown]
	v_sub_f16_e32 v20, v29, v40
	v_sub_f16_e32 v51, v27, v41
	v_add_f16_e32 v20, v20, v51
	v_add_f16_e32 v51, v40, v41
	v_fma_f16 v51, v51, -0.5, v16
	v_fma_f16 v52, v45, s7, v51
	v_fma_f16 v45, v45, s6, v51
	v_add_f16_e32 v16, v16, v40
	v_fma_f16 v51, v21, s5, v52
	v_fma_f16 v21, v21, s10, v45
	v_add_f16_e32 v16, v16, v29
	;; [unrolled: 3-line block ×3, first 2 shown]
	v_sub_f16_e32 v21, v40, v41
	v_sub_f16_e32 v27, v29, v27
	;; [unrolled: 1-line block ×4, first 2 shown]
	v_add_f16_e32 v29, v29, v40
	v_add_f16_e32 v40, v24, v25
	v_fma_f16 v40, v40, -0.5, v38
	v_add_f16_e32 v16, v16, v41
	v_fma_f16 v41, v21, s7, v40
	v_fma_f16 v40, v21, s6, v40
	;; [unrolled: 1-line block ×6, first 2 shown]
	v_add_f16_e32 v29, v23, v26
	v_fma_f16 v29, v29, -0.5, v38
	v_add_f16_e32 v38, v38, v23
	v_add_f16_e32 v38, v38, v24
	v_sub_f16_e32 v23, v24, v23
	v_add_f16_e32 v24, v38, v25
	v_add_f16_e32 v38, v24, v26
	v_sub_f16_e32 v24, v25, v26
	v_add_f16_e32 v23, v23, v24
	v_fma_f16 v24, v27, s6, v29
	v_fma_f16 v25, v27, s7, v29
	;; [unrolled: 1-line block ×6, first 2 shown]
	s_barrier
	ds_write_b16 v9, v18
	ds_write_b16 v9, v47 offset:250
	ds_write_b16 v9, v48 offset:500
	;; [unrolled: 1-line block ×14, first 2 shown]
	s_waitcnt lgkmcnt(0)
	s_barrier
	ds_read_u16 v15, v10
	ds_read_u16 v22, v9 offset:1750
	ds_read_u16 v25, v9 offset:2000
	ds_read_u16 v16, v9 offset:2500
	ds_read_u16 v28, v9 offset:2250
	ds_read_u16 v19, v9 offset:1500
	ds_read_u16 v17, v9 offset:1250
	ds_read_u16 v24, v11
	ds_read_u16 v20, v9 offset:2750
	ds_read_u16 v23, v9 offset:3000
	;; [unrolled: 1-line block ×3, first 2 shown]
	ds_read_u16 v21, v13
	ds_read_u16 v26, v14
	;; [unrolled: 1-line block ×3, first 2 shown]
	ds_read_u16 v29, v9 offset:3500
	s_waitcnt lgkmcnt(0)
	s_barrier
	ds_write_b16 v9, v34
	ds_write_b16 v9, v49 offset:250
	ds_write_b16 v9, v32 offset:500
	;; [unrolled: 1-line block ×14, first 2 shown]
	s_waitcnt lgkmcnt(0)
	s_barrier
	s_and_saveexec_b64 s[0:1], vcc
	s_cbranch_execz .LBB0_15
; %bb.14:
	v_lshlrev_b32_e32 v2, 1, v7
	v_lshlrev_b64 v[30:31], 2, v[2:3]
	v_lshlrev_b32_e32 v2, 1, v6
	v_mov_b32_e32 v34, s9
	v_add_co_u32_e32 v30, vcc, s8, v30
	v_lshlrev_b64 v[6:7], 2, v[2:3]
	v_addc_co_u32_e32 v31, vcc, v34, v31, vcc
	v_lshlrev_b32_e32 v2, 1, v8
	v_add_co_u32_e32 v6, vcc, s8, v6
	v_lshlrev_b64 v[32:33], 2, v[2:3]
	v_addc_co_u32_e32 v7, vcc, v34, v7, vcc
	v_add_co_u32_e32 v32, vcc, s8, v32
	global_load_dwordx2 v[30:31], v[30:31], off offset:2480
	v_addc_co_u32_e32 v33, vcc, v34, v33, vcc
	global_load_dwordx2 v[32:33], v[32:33], off offset:2480
	v_lshlrev_b32_e32 v2, 1, v5
	global_load_dwordx2 v[6:7], v[6:7], off offset:2480
	ds_read_u16 v8, v9 offset:3500
	ds_read_u16 v35, v13
	ds_read_u16 v14, v14
	;; [unrolled: 1-line block ×3, first 2 shown]
	ds_read_u16 v37, v9 offset:2500
	v_lshlrev_b64 v[12:13], 2, v[2:3]
	v_lshlrev_b32_e32 v2, 1, v4
	v_add_co_u32_e32 v12, vcc, s8, v12
	v_addc_co_u32_e32 v13, vcc, v34, v13, vcc
	global_load_dwordx2 v[12:13], v[12:13], off offset:2480
	v_lshlrev_b64 v[2:3], 2, v[2:3]
	ds_read_u16 v5, v9 offset:2250
	ds_read_u16 v38, v9 offset:2000
	;; [unrolled: 1-line block ×5, first 2 shown]
	ds_read_u16 v11, v11
	ds_read_u16 v10, v10
	v_add_co_u32_e32 v2, vcc, s8, v2
	v_addc_co_u32_e32 v3, vcc, v34, v3, vcc
	global_load_dwordx2 v[2:3], v[2:3], off offset:2480
	ds_read_u16 v42, v9 offset:3250
	s_movk_i32 s0, 0x3aee
	s_mov_b32 s1, 0xbaee
	s_waitcnt vmcnt(4) lgkmcnt(7)
	v_mul_f16_sdwa v34, v5, v30 dst_sel:DWORD dst_unused:UNUSED_PAD src0_sel:DWORD src1_sel:WORD_1
	v_mul_f16_sdwa v43, v8, v31 dst_sel:DWORD dst_unused:UNUSED_PAD src0_sel:DWORD src1_sel:WORD_1
	;; [unrolled: 1-line block ×4, first 2 shown]
	v_fma_f16 v28, v28, v30, -v34
	v_fma_f16 v29, v29, v31, -v43
	v_fma_f16 v5, v30, v5, v44
	v_fma_f16 v8, v31, v8, v45
	ds_read_u16 v31, v9 offset:3000
	s_waitcnt vmcnt(2) lgkmcnt(7)
	v_mul_f16_sdwa v30, v38, v6 dst_sel:DWORD dst_unused:UNUSED_PAD src0_sel:DWORD src1_sel:WORD_1
	s_waitcnt lgkmcnt(1)
	v_mul_f16_sdwa v34, v42, v7 dst_sel:DWORD dst_unused:UNUSED_PAD src0_sel:DWORD src1_sel:WORD_1
	v_mul_f16_sdwa v43, v25, v6 dst_sel:DWORD dst_unused:UNUSED_PAD src0_sel:DWORD src1_sel:WORD_1
	v_mul_f16_sdwa v44, v27, v7 dst_sel:DWORD dst_unused:UNUSED_PAD src0_sel:DWORD src1_sel:WORD_1
	v_add_f16_e32 v48, v28, v29
	v_fma_f16 v25, v25, v6, -v30
	v_fma_f16 v27, v27, v7, -v34
	v_fma_f16 v6, v6, v38, v43
	v_fma_f16 v7, v7, v42, v44
	v_sub_f16_e32 v45, v28, v29
	v_add_f16_e32 v46, v5, v8
	v_add_f16_e32 v47, v5, v14
	v_sub_f16_e32 v5, v5, v8
	v_add_f16_e32 v28, v26, v28
	v_fma_f16 v26, v48, -0.5, v26
	v_add_f16_e32 v30, v6, v7
	v_add_f16_e32 v28, v28, v29
	v_sub_f16_e32 v29, v25, v27
	v_add_f16_e32 v38, v25, v27
	v_fma_f16 v43, v5, s1, v26
	v_fma_f16 v26, v5, s0, v26
	v_fma_f16 v5, v30, -0.5, v11
	v_add_f16_e32 v34, v6, v11
	v_fma_f16 v30, v29, s0, v5
	v_fma_f16 v29, v29, s1, v5
	v_fma_f16 v5, v38, -0.5, v24
	v_sub_f16_e32 v6, v6, v7
	v_add_f16_e32 v11, v7, v34
	v_fma_f16 v34, v6, s1, v5
	v_fma_f16 v38, v6, s0, v5
	ds_read_u16 v6, v9 offset:2750
	v_add_f16_e32 v5, v24, v25
	v_add_f16_e32 v24, v5, v27
	v_mul_f16_sdwa v5, v39, v32 dst_sel:DWORD dst_unused:UNUSED_PAD src0_sel:DWORD src1_sel:WORD_1
	s_waitcnt lgkmcnt(1)
	v_mul_f16_sdwa v7, v31, v33 dst_sel:DWORD dst_unused:UNUSED_PAD src0_sel:DWORD src1_sel:WORD_1
	v_fma_f16 v5, v22, v32, -v5
	v_fma_f16 v7, v23, v33, -v7
	v_mul_f16_sdwa v23, v23, v33 dst_sel:DWORD dst_unused:UNUSED_PAD src0_sel:DWORD src1_sel:WORD_1
	v_sub_f16_e32 v9, v5, v7
	v_fma_f16 v23, v33, v31, v23
	v_add_f16_e32 v31, v5, v7
	v_add_f16_e32 v5, v21, v5
	v_mul_f16_sdwa v22, v22, v32 dst_sel:DWORD dst_unused:UNUSED_PAD src0_sel:DWORD src1_sel:WORD_1
	v_fma_f16 v31, v31, -0.5, v21
	v_add_f16_e32 v21, v5, v7
	s_waitcnt vmcnt(1)
	v_mul_f16_sdwa v5, v40, v12 dst_sel:DWORD dst_unused:UNUSED_PAD src0_sel:DWORD src1_sel:WORD_1
	v_fma_f16 v22, v32, v39, v22
	v_fma_f16 v5, v19, v12, -v5
	v_mul_f16_sdwa v19, v19, v12 dst_sel:DWORD dst_unused:UNUSED_PAD src0_sel:DWORD src1_sel:WORD_1
	v_add_f16_e32 v25, v22, v23
	v_fma_f16 v12, v12, v40, v19
	v_mul_f16_sdwa v19, v20, v13 dst_sel:DWORD dst_unused:UNUSED_PAD src0_sel:DWORD src1_sel:WORD_1
	v_fma_f16 v25, v25, -0.5, v35
	s_waitcnt lgkmcnt(0)
	v_mul_f16_sdwa v7, v6, v13 dst_sel:DWORD dst_unused:UNUSED_PAD src0_sel:DWORD src1_sel:WORD_1
	v_fma_f16 v6, v13, v6, v19
	v_fma_f16 v27, v9, s0, v25
	;; [unrolled: 1-line block ×3, first 2 shown]
	v_add_f16_e32 v25, v22, v35
	v_sub_f16_e32 v22, v22, v23
	v_fma_f16 v7, v20, v13, -v7
	v_add_f16_e32 v13, v12, v6
	v_add_f16_e32 v25, v23, v25
	v_fma_f16 v23, v22, s1, v31
	v_fma_f16 v22, v22, s0, v31
	v_sub_f16_e32 v31, v5, v7
	v_fma_f16 v13, v13, -0.5, v36
	v_fma_f16 v19, v31, s0, v13
	v_fma_f16 v13, v31, s1, v13
	v_add_f16_e32 v20, v12, v36
	v_add_f16_e32 v31, v5, v7
	;; [unrolled: 1-line block ×3, first 2 shown]
	v_fma_f16 v31, v31, -0.5, v18
	v_sub_f16_e32 v6, v12, v6
	v_add_f16_e32 v5, v18, v5
	v_fma_f16 v12, v6, s1, v31
	v_fma_f16 v31, v6, s0, v31
	v_add_f16_e32 v18, v5, v7
	s_waitcnt vmcnt(0)
	v_mul_f16_sdwa v5, v41, v2 dst_sel:DWORD dst_unused:UNUSED_PAD src0_sel:DWORD src1_sel:WORD_1
	v_mul_f16_sdwa v6, v17, v2 dst_sel:DWORD dst_unused:UNUSED_PAD src0_sel:DWORD src1_sel:WORD_1
	v_fma_f16 v7, v17, v2, -v5
	v_mul_f16_sdwa v5, v37, v3 dst_sel:DWORD dst_unused:UNUSED_PAD src0_sel:DWORD src1_sel:WORD_1
	v_fma_f16 v6, v2, v41, v6
	v_mul_f16_sdwa v2, v16, v3 dst_sel:DWORD dst_unused:UNUSED_PAD src0_sel:DWORD src1_sel:WORD_1
	v_fma_f16 v32, v16, v3, -v5
	v_fma_f16 v16, v3, v37, v2
	v_add_f16_e32 v2, v6, v16
	v_sub_f16_e32 v5, v7, v32
	v_fma_f16 v2, v2, -0.5, v10
	v_fma_f16 v17, v5, s0, v2
	v_fma_f16 v33, v5, s1, v2
	v_add_f16_e32 v2, v6, v10
	v_add_f16_e32 v10, v16, v2
	v_mad_u64_u32 v[2:3], s[4:5], s2, v4, 0
	v_add_f16_e32 v5, v7, v32
	v_fma_f16 v35, v5, -0.5, v15
	v_sub_f16_e32 v16, v6, v16
	v_mad_u64_u32 v[5:6], s[4:5], s3, v4, v[3:4]
	v_add_f16_e32 v3, v15, v7
	v_fma_f16 v14, v46, -0.5, v14
	v_add_f16_e32 v7, v3, v32
	v_add_u32_e32 v32, 0x271, v4
	v_fma_f16 v42, v45, s0, v14
	v_fma_f16 v14, v45, s1, v14
	;; [unrolled: 1-line block ×4, first 2 shown]
	v_mov_b32_e32 v3, v5
	v_mad_u64_u32 v[5:6], s[0:1], s2, v32, 0
	v_mov_b32_e32 v15, s13
	v_add_co_u32_e32 v35, vcc, s12, v0
	v_addc_co_u32_e32 v15, vcc, v15, v1, vcc
	v_lshlrev_b64 v[0:1], 2, v[2:3]
	v_mov_b32_e32 v2, v6
	v_mad_u64_u32 v[2:3], s[0:1], s3, v32, v[2:3]
	v_add_co_u32_e32 v0, vcc, v35, v0
	v_addc_co_u32_e32 v1, vcc, v15, v1, vcc
	v_pack_b32_f16 v3, v7, v10
	v_mov_b32_e32 v6, v2
	global_store_dword v[0:1], v3, off
	v_lshlrev_b64 v[0:1], 2, v[5:6]
	v_add_u32_e32 v5, 0x4e2, v4
	v_mad_u64_u32 v[2:3], s[0:1], s2, v5, 0
	v_add_co_u32_e32 v0, vcc, v35, v0
	v_mad_u64_u32 v[5:6], s[0:1], s3, v5, v[3:4]
	v_addc_co_u32_e32 v1, vcc, v15, v1, vcc
	v_pack_b32_f16 v3, v16, v33
	global_store_dword v[0:1], v3, off
	v_mov_b32_e32 v3, v5
	v_add_u32_e32 v5, 0x7d, v4
	v_lshlrev_b64 v[0:1], 2, v[2:3]
	v_mad_u64_u32 v[2:3], s[0:1], s2, v5, 0
	v_add_u32_e32 v16, 0x2ee, v4
	v_add_co_u32_e32 v0, vcc, v35, v0
	v_mad_u64_u32 v[5:6], s[0:1], s3, v5, v[3:4]
	v_mad_u64_u32 v[6:7], s[0:1], s2, v16, 0
	v_addc_co_u32_e32 v1, vcc, v15, v1, vcc
	v_pack_b32_f16 v10, v36, v17
	v_mov_b32_e32 v3, v5
	global_store_dword v[0:1], v10, off
	v_lshlrev_b64 v[0:1], 2, v[2:3]
	v_mov_b32_e32 v2, v7
	v_mad_u64_u32 v[2:3], s[0:1], s3, v16, v[2:3]
	v_add_co_u32_e32 v0, vcc, v35, v0
	v_addc_co_u32_e32 v1, vcc, v15, v1, vcc
	v_pack_b32_f16 v3, v18, v20
	v_add_u32_e32 v5, 0x55f, v4
	global_store_dword v[0:1], v3, off
	v_mov_b32_e32 v7, v2
	v_mad_u64_u32 v[2:3], s[0:1], s2, v5, 0
	v_lshlrev_b64 v[0:1], 2, v[6:7]
	v_pack_b32_f16 v10, v31, v13
	v_mad_u64_u32 v[5:6], s[0:1], s3, v5, v[3:4]
	v_add_u32_e32 v13, 0xfa, v4
	v_mad_u64_u32 v[6:7], s[0:1], s2, v13, 0
	v_add_co_u32_e32 v0, vcc, v35, v0
	v_addc_co_u32_e32 v1, vcc, v15, v1, vcc
	v_mov_b32_e32 v3, v5
	global_store_dword v[0:1], v10, off
	v_lshlrev_b64 v[0:1], 2, v[2:3]
	v_mov_b32_e32 v2, v7
	v_mad_u64_u32 v[2:3], s[0:1], s3, v13, v[2:3]
	v_add_co_u32_e32 v0, vcc, v35, v0
	v_addc_co_u32_e32 v1, vcc, v15, v1, vcc
	v_pack_b32_f16 v3, v12, v19
	v_add_u32_e32 v5, 0x36b, v4
	global_store_dword v[0:1], v3, off
	v_mov_b32_e32 v7, v2
	v_mad_u64_u32 v[2:3], s[0:1], s2, v5, 0
	v_lshlrev_b64 v[0:1], 2, v[6:7]
	v_add_u32_e32 v12, 0x5dc, v4
	v_mad_u64_u32 v[5:6], s[0:1], s3, v5, v[3:4]
	v_mad_u64_u32 v[6:7], s[0:1], s2, v12, 0
	v_add_co_u32_e32 v0, vcc, v35, v0
	v_addc_co_u32_e32 v1, vcc, v15, v1, vcc
	v_pack_b32_f16 v10, v21, v25
	v_mov_b32_e32 v3, v5
	global_store_dword v[0:1], v10, off
	v_lshlrev_b64 v[0:1], 2, v[2:3]
	v_mov_b32_e32 v2, v7
	v_mad_u64_u32 v[2:3], s[0:1], s3, v12, v[2:3]
	v_add_co_u32_e32 v0, vcc, v35, v0
	v_addc_co_u32_e32 v1, vcc, v15, v1, vcc
	v_pack_b32_f16 v3, v22, v9
	v_add_u32_e32 v5, 0x177, v4
	global_store_dword v[0:1], v3, off
	v_mov_b32_e32 v7, v2
	v_mad_u64_u32 v[2:3], s[0:1], s2, v5, 0
	v_lshlrev_b64 v[0:1], 2, v[6:7]
	v_add_u32_e32 v10, 0x3e8, v4
	v_mad_u64_u32 v[5:6], s[0:1], s3, v5, v[3:4]
	v_mad_u64_u32 v[6:7], s[0:1], s2, v10, 0
	v_add_co_u32_e32 v0, vcc, v35, v0
	v_addc_co_u32_e32 v1, vcc, v15, v1, vcc
	v_pack_b32_f16 v9, v23, v27
	v_mov_b32_e32 v3, v5
	global_store_dword v[0:1], v9, off
	v_lshlrev_b64 v[0:1], 2, v[2:3]
	v_mov_b32_e32 v2, v7
	v_mad_u64_u32 v[2:3], s[0:1], s3, v10, v[2:3]
	v_add_co_u32_e32 v0, vcc, v35, v0
	v_addc_co_u32_e32 v1, vcc, v15, v1, vcc
	v_pack_b32_f16 v3, v24, v11
	v_add_u32_e32 v5, 0x659, v4
	global_store_dword v[0:1], v3, off
	v_mov_b32_e32 v7, v2
	v_mad_u64_u32 v[2:3], s[0:1], s2, v5, 0
	v_lshlrev_b64 v[0:1], 2, v[6:7]
	v_add_u32_e32 v7, 0x1f4, v4
	s_mov_b32 s0, 0xd1b71759
	v_mul_hi_u32 v9, v7, s0
	v_mad_u64_u32 v[3:4], s[0:1], s3, v5, v[3:4]
	s_movk_i32 s4, 0x4e2
	v_lshrrev_b32_e32 v4, 9, v9
	v_mad_u32_u24 v7, v4, s4, v7
	v_mad_u64_u32 v[4:5], s[0:1], s2, v7, 0
	v_add_co_u32_e32 v0, vcc, v35, v0
	v_addc_co_u32_e32 v1, vcc, v15, v1, vcc
	v_pack_b32_f16 v6, v38, v29
	global_store_dword v[0:1], v6, off
	v_lshlrev_b64 v[0:1], 2, v[2:3]
	v_mov_b32_e32 v2, v5
	v_mad_u64_u32 v[2:3], s[0:1], s3, v7, v[2:3]
	v_add_co_u32_e32 v0, vcc, v35, v0
	v_addc_co_u32_e32 v1, vcc, v15, v1, vcc
	v_pack_b32_f16 v3, v34, v30
	v_mov_b32_e32 v5, v2
	global_store_dword v[0:1], v3, off
	v_lshlrev_b64 v[0:1], 2, v[4:5]
	v_add_u32_e32 v4, 0x271, v7
	v_mad_u64_u32 v[2:3], s[0:1], s2, v4, 0
	v_add_u32_e32 v7, 0x4e2, v7
	v_add_f16_e32 v8, v8, v47
	v_mad_u64_u32 v[3:4], s[0:1], s3, v4, v[3:4]
	v_mad_u64_u32 v[4:5], s[0:1], s2, v7, 0
	v_add_co_u32_e32 v0, vcc, v35, v0
	v_addc_co_u32_e32 v1, vcc, v15, v1, vcc
	v_pack_b32_f16 v6, v28, v8
	global_store_dword v[0:1], v6, off
	v_lshlrev_b64 v[0:1], 2, v[2:3]
	v_mov_b32_e32 v2, v5
	v_mad_u64_u32 v[2:3], s[0:1], s3, v7, v[2:3]
	v_add_co_u32_e32 v0, vcc, v35, v0
	v_addc_co_u32_e32 v1, vcc, v15, v1, vcc
	v_pack_b32_f16 v3, v26, v14
	v_mov_b32_e32 v5, v2
	global_store_dword v[0:1], v3, off
	v_lshlrev_b64 v[0:1], 2, v[4:5]
	v_pack_b32_f16 v2, v43, v42
	v_add_co_u32_e32 v0, vcc, v35, v0
	v_addc_co_u32_e32 v1, vcc, v15, v1, vcc
	global_store_dword v[0:1], v2, off
.LBB0_15:
	s_endpgm
	.section	.rodata,"a",@progbits
	.p2align	6, 0x0
	.amdhsa_kernel fft_rtc_fwd_len1875_factors_5_5_5_5_3_wgs_250_tpt_125_halfLds_half_ip_CI_sbrr_dirReg
		.amdhsa_group_segment_fixed_size 0
		.amdhsa_private_segment_fixed_size 0
		.amdhsa_kernarg_size 88
		.amdhsa_user_sgpr_count 6
		.amdhsa_user_sgpr_private_segment_buffer 1
		.amdhsa_user_sgpr_dispatch_ptr 0
		.amdhsa_user_sgpr_queue_ptr 0
		.amdhsa_user_sgpr_kernarg_segment_ptr 1
		.amdhsa_user_sgpr_dispatch_id 0
		.amdhsa_user_sgpr_flat_scratch_init 0
		.amdhsa_user_sgpr_private_segment_size 0
		.amdhsa_uses_dynamic_stack 0
		.amdhsa_system_sgpr_private_segment_wavefront_offset 0
		.amdhsa_system_sgpr_workgroup_id_x 1
		.amdhsa_system_sgpr_workgroup_id_y 0
		.amdhsa_system_sgpr_workgroup_id_z 0
		.amdhsa_system_sgpr_workgroup_info 0
		.amdhsa_system_vgpr_workitem_id 0
		.amdhsa_next_free_vgpr 63
		.amdhsa_next_free_sgpr 24
		.amdhsa_reserve_vcc 1
		.amdhsa_reserve_flat_scratch 0
		.amdhsa_float_round_mode_32 0
		.amdhsa_float_round_mode_16_64 0
		.amdhsa_float_denorm_mode_32 3
		.amdhsa_float_denorm_mode_16_64 3
		.amdhsa_dx10_clamp 1
		.amdhsa_ieee_mode 1
		.amdhsa_fp16_overflow 0
		.amdhsa_exception_fp_ieee_invalid_op 0
		.amdhsa_exception_fp_denorm_src 0
		.amdhsa_exception_fp_ieee_div_zero 0
		.amdhsa_exception_fp_ieee_overflow 0
		.amdhsa_exception_fp_ieee_underflow 0
		.amdhsa_exception_fp_ieee_inexact 0
		.amdhsa_exception_int_div_zero 0
	.end_amdhsa_kernel
	.text
.Lfunc_end0:
	.size	fft_rtc_fwd_len1875_factors_5_5_5_5_3_wgs_250_tpt_125_halfLds_half_ip_CI_sbrr_dirReg, .Lfunc_end0-fft_rtc_fwd_len1875_factors_5_5_5_5_3_wgs_250_tpt_125_halfLds_half_ip_CI_sbrr_dirReg
                                        ; -- End function
	.section	.AMDGPU.csdata,"",@progbits
; Kernel info:
; codeLenInByte = 11972
; NumSgprs: 28
; NumVgprs: 63
; ScratchSize: 0
; MemoryBound: 0
; FloatMode: 240
; IeeeMode: 1
; LDSByteSize: 0 bytes/workgroup (compile time only)
; SGPRBlocks: 3
; VGPRBlocks: 15
; NumSGPRsForWavesPerEU: 28
; NumVGPRsForWavesPerEU: 63
; Occupancy: 4
; WaveLimiterHint : 1
; COMPUTE_PGM_RSRC2:SCRATCH_EN: 0
; COMPUTE_PGM_RSRC2:USER_SGPR: 6
; COMPUTE_PGM_RSRC2:TRAP_HANDLER: 0
; COMPUTE_PGM_RSRC2:TGID_X_EN: 1
; COMPUTE_PGM_RSRC2:TGID_Y_EN: 0
; COMPUTE_PGM_RSRC2:TGID_Z_EN: 0
; COMPUTE_PGM_RSRC2:TIDIG_COMP_CNT: 0
	.type	__hip_cuid_7a66cf841ba8c3e9,@object ; @__hip_cuid_7a66cf841ba8c3e9
	.section	.bss,"aw",@nobits
	.globl	__hip_cuid_7a66cf841ba8c3e9
__hip_cuid_7a66cf841ba8c3e9:
	.byte	0                               ; 0x0
	.size	__hip_cuid_7a66cf841ba8c3e9, 1

	.ident	"AMD clang version 19.0.0git (https://github.com/RadeonOpenCompute/llvm-project roc-6.4.0 25133 c7fe45cf4b819c5991fe208aaa96edf142730f1d)"
	.section	".note.GNU-stack","",@progbits
	.addrsig
	.addrsig_sym __hip_cuid_7a66cf841ba8c3e9
	.amdgpu_metadata
---
amdhsa.kernels:
  - .args:
      - .actual_access:  read_only
        .address_space:  global
        .offset:         0
        .size:           8
        .value_kind:     global_buffer
      - .offset:         8
        .size:           8
        .value_kind:     by_value
      - .actual_access:  read_only
        .address_space:  global
        .offset:         16
        .size:           8
        .value_kind:     global_buffer
      - .actual_access:  read_only
        .address_space:  global
        .offset:         24
        .size:           8
        .value_kind:     global_buffer
      - .offset:         32
        .size:           8
        .value_kind:     by_value
      - .actual_access:  read_only
        .address_space:  global
        .offset:         40
        .size:           8
        .value_kind:     global_buffer
      - .actual_access:  read_only
        .address_space:  global
        .offset:         48
        .size:           8
        .value_kind:     global_buffer
      - .offset:         56
        .size:           4
        .value_kind:     by_value
      - .actual_access:  read_only
        .address_space:  global
        .offset:         64
        .size:           8
        .value_kind:     global_buffer
      - .actual_access:  read_only
        .address_space:  global
        .offset:         72
        .size:           8
        .value_kind:     global_buffer
      - .address_space:  global
        .offset:         80
        .size:           8
        .value_kind:     global_buffer
    .group_segment_fixed_size: 0
    .kernarg_segment_align: 8
    .kernarg_segment_size: 88
    .language:       OpenCL C
    .language_version:
      - 2
      - 0
    .max_flat_workgroup_size: 250
    .name:           fft_rtc_fwd_len1875_factors_5_5_5_5_3_wgs_250_tpt_125_halfLds_half_ip_CI_sbrr_dirReg
    .private_segment_fixed_size: 0
    .sgpr_count:     28
    .sgpr_spill_count: 0
    .symbol:         fft_rtc_fwd_len1875_factors_5_5_5_5_3_wgs_250_tpt_125_halfLds_half_ip_CI_sbrr_dirReg.kd
    .uniform_work_group_size: 1
    .uses_dynamic_stack: false
    .vgpr_count:     63
    .vgpr_spill_count: 0
    .wavefront_size: 64
amdhsa.target:   amdgcn-amd-amdhsa--gfx906
amdhsa.version:
  - 1
  - 2
...

	.end_amdgpu_metadata
